;; amdgpu-corpus repo=ROCm/rocFFT kind=compiled arch=gfx906 opt=O3
	.text
	.amdgcn_target "amdgcn-amd-amdhsa--gfx906"
	.amdhsa_code_object_version 6
	.protected	fft_rtc_back_len867_factors_17_17_3_wgs_51_tpt_51_halfLds_dp_op_CI_CI_sbrr_dirReg ; -- Begin function fft_rtc_back_len867_factors_17_17_3_wgs_51_tpt_51_halfLds_dp_op_CI_CI_sbrr_dirReg
	.globl	fft_rtc_back_len867_factors_17_17_3_wgs_51_tpt_51_halfLds_dp_op_CI_CI_sbrr_dirReg
	.p2align	8
	.type	fft_rtc_back_len867_factors_17_17_3_wgs_51_tpt_51_halfLds_dp_op_CI_CI_sbrr_dirReg,@function
fft_rtc_back_len867_factors_17_17_3_wgs_51_tpt_51_halfLds_dp_op_CI_CI_sbrr_dirReg: ; @fft_rtc_back_len867_factors_17_17_3_wgs_51_tpt_51_halfLds_dp_op_CI_CI_sbrr_dirReg
; %bb.0:
	s_load_dwordx4 s[16:19], s[4:5], 0x18
	s_load_dwordx4 s[8:11], s[4:5], 0x0
	;; [unrolled: 1-line block ×3, first 2 shown]
	v_mul_u32_u24_e32 v1, 0x506, v0
	v_add_u32_sdwa v6, s6, v1 dst_sel:DWORD dst_unused:UNUSED_PAD src0_sel:DWORD src1_sel:WORD_1
	s_waitcnt lgkmcnt(0)
	s_load_dwordx2 s[20:21], s[16:17], 0x0
	s_load_dwordx2 s[2:3], s[18:19], 0x0
	v_cmp_lt_u64_e64 s[0:1], s[10:11], 2
	v_mov_b32_e32 v1, 0
	v_mov_b32_e32 v4, 0
	;; [unrolled: 1-line block ×3, first 2 shown]
	s_and_b64 vcc, exec, s[0:1]
	v_mov_b32_e32 v5, 0
	s_cbranch_vccnz .LBB0_8
; %bb.1:
	s_load_dwordx2 s[0:1], s[4:5], 0x10
	s_add_u32 s6, s18, 8
	s_addc_u32 s7, s19, 0
	s_add_u32 s22, s16, 8
	v_mov_b32_e32 v4, 0
	s_addc_u32 s23, s17, 0
	v_mov_b32_e32 v5, 0
	s_waitcnt lgkmcnt(0)
	s_add_u32 s24, s0, 8
	v_mov_b32_e32 v69, v5
	s_addc_u32 s25, s1, 0
	s_mov_b64 s[26:27], 1
	v_mov_b32_e32 v68, v4
.LBB0_2:                                ; =>This Inner Loop Header: Depth=1
	s_load_dwordx2 s[28:29], s[24:25], 0x0
                                        ; implicit-def: $vgpr70_vgpr71
	s_waitcnt lgkmcnt(0)
	v_or_b32_e32 v2, s29, v7
	v_cmp_ne_u64_e32 vcc, 0, v[1:2]
	s_and_saveexec_b64 s[0:1], vcc
	s_xor_b64 s[30:31], exec, s[0:1]
	s_cbranch_execz .LBB0_4
; %bb.3:                                ;   in Loop: Header=BB0_2 Depth=1
	v_cvt_f32_u32_e32 v2, s28
	v_cvt_f32_u32_e32 v3, s29
	s_sub_u32 s0, 0, s28
	s_subb_u32 s1, 0, s29
	v_mac_f32_e32 v2, 0x4f800000, v3
	v_rcp_f32_e32 v2, v2
	v_mul_f32_e32 v2, 0x5f7ffffc, v2
	v_mul_f32_e32 v3, 0x2f800000, v2
	v_trunc_f32_e32 v3, v3
	v_mac_f32_e32 v2, 0xcf800000, v3
	v_cvt_u32_f32_e32 v3, v3
	v_cvt_u32_f32_e32 v2, v2
	v_mul_lo_u32 v8, s0, v3
	v_mul_hi_u32 v9, s0, v2
	v_mul_lo_u32 v11, s1, v2
	v_mul_lo_u32 v10, s0, v2
	v_add_u32_e32 v8, v9, v8
	v_add_u32_e32 v8, v8, v11
	v_mul_hi_u32 v9, v2, v10
	v_mul_lo_u32 v11, v2, v8
	v_mul_hi_u32 v13, v2, v8
	v_mul_hi_u32 v12, v3, v10
	v_mul_lo_u32 v10, v3, v10
	v_mul_hi_u32 v14, v3, v8
	v_add_co_u32_e32 v9, vcc, v9, v11
	v_addc_co_u32_e32 v11, vcc, 0, v13, vcc
	v_mul_lo_u32 v8, v3, v8
	v_add_co_u32_e32 v9, vcc, v9, v10
	v_addc_co_u32_e32 v9, vcc, v11, v12, vcc
	v_addc_co_u32_e32 v10, vcc, 0, v14, vcc
	v_add_co_u32_e32 v8, vcc, v9, v8
	v_addc_co_u32_e32 v9, vcc, 0, v10, vcc
	v_add_co_u32_e32 v2, vcc, v2, v8
	v_addc_co_u32_e32 v3, vcc, v3, v9, vcc
	v_mul_lo_u32 v8, s0, v3
	v_mul_hi_u32 v9, s0, v2
	v_mul_lo_u32 v10, s1, v2
	v_mul_lo_u32 v11, s0, v2
	v_add_u32_e32 v8, v9, v8
	v_add_u32_e32 v8, v8, v10
	v_mul_lo_u32 v12, v2, v8
	v_mul_hi_u32 v13, v2, v11
	v_mul_hi_u32 v14, v2, v8
	;; [unrolled: 1-line block ×3, first 2 shown]
	v_mul_lo_u32 v11, v3, v11
	v_mul_hi_u32 v9, v3, v8
	v_add_co_u32_e32 v12, vcc, v13, v12
	v_addc_co_u32_e32 v13, vcc, 0, v14, vcc
	v_mul_lo_u32 v8, v3, v8
	v_add_co_u32_e32 v11, vcc, v12, v11
	v_addc_co_u32_e32 v10, vcc, v13, v10, vcc
	v_addc_co_u32_e32 v9, vcc, 0, v9, vcc
	v_add_co_u32_e32 v8, vcc, v10, v8
	v_addc_co_u32_e32 v9, vcc, 0, v9, vcc
	v_add_co_u32_e32 v8, vcc, v2, v8
	v_addc_co_u32_e32 v9, vcc, v3, v9, vcc
	v_mad_u64_u32 v[2:3], s[0:1], v6, v9, 0
	v_mul_hi_u32 v10, v6, v8
	v_add_co_u32_e32 v10, vcc, v10, v2
	v_addc_co_u32_e32 v11, vcc, 0, v3, vcc
	v_mad_u64_u32 v[2:3], s[0:1], v7, v8, 0
	v_mad_u64_u32 v[8:9], s[0:1], v7, v9, 0
	v_add_co_u32_e32 v2, vcc, v10, v2
	v_addc_co_u32_e32 v2, vcc, v11, v3, vcc
	v_addc_co_u32_e32 v3, vcc, 0, v9, vcc
	v_add_co_u32_e32 v8, vcc, v2, v8
	v_addc_co_u32_e32 v9, vcc, 0, v3, vcc
	v_mul_lo_u32 v10, s29, v8
	v_mul_lo_u32 v11, s28, v9
	v_mad_u64_u32 v[2:3], s[0:1], s28, v8, 0
	v_add3_u32 v3, v3, v11, v10
	v_sub_u32_e32 v10, v7, v3
	v_mov_b32_e32 v11, s29
	v_sub_co_u32_e32 v2, vcc, v6, v2
	v_subb_co_u32_e64 v10, s[0:1], v10, v11, vcc
	v_subrev_co_u32_e64 v11, s[0:1], s28, v2
	v_subbrev_co_u32_e64 v10, s[0:1], 0, v10, s[0:1]
	v_cmp_le_u32_e64 s[0:1], s29, v10
	v_cndmask_b32_e64 v12, 0, -1, s[0:1]
	v_cmp_le_u32_e64 s[0:1], s28, v11
	v_cndmask_b32_e64 v11, 0, -1, s[0:1]
	v_cmp_eq_u32_e64 s[0:1], s29, v10
	v_cndmask_b32_e64 v10, v12, v11, s[0:1]
	v_add_co_u32_e64 v11, s[0:1], 2, v8
	v_addc_co_u32_e64 v12, s[0:1], 0, v9, s[0:1]
	v_add_co_u32_e64 v13, s[0:1], 1, v8
	v_addc_co_u32_e64 v14, s[0:1], 0, v9, s[0:1]
	v_subb_co_u32_e32 v3, vcc, v7, v3, vcc
	v_cmp_ne_u32_e64 s[0:1], 0, v10
	v_cmp_le_u32_e32 vcc, s29, v3
	v_cndmask_b32_e64 v10, v14, v12, s[0:1]
	v_cndmask_b32_e64 v12, 0, -1, vcc
	v_cmp_le_u32_e32 vcc, s28, v2
	v_cndmask_b32_e64 v2, 0, -1, vcc
	v_cmp_eq_u32_e32 vcc, s29, v3
	v_cndmask_b32_e32 v2, v12, v2, vcc
	v_cmp_ne_u32_e32 vcc, 0, v2
	v_cndmask_b32_e64 v2, v13, v11, s[0:1]
	v_cndmask_b32_e32 v71, v9, v10, vcc
	v_cndmask_b32_e32 v70, v8, v2, vcc
.LBB0_4:                                ;   in Loop: Header=BB0_2 Depth=1
	s_andn2_saveexec_b64 s[0:1], s[30:31]
	s_cbranch_execz .LBB0_6
; %bb.5:                                ;   in Loop: Header=BB0_2 Depth=1
	v_cvt_f32_u32_e32 v2, s28
	s_sub_i32 s30, 0, s28
	v_mov_b32_e32 v71, v1
	v_rcp_iflag_f32_e32 v2, v2
	v_mul_f32_e32 v2, 0x4f7ffffe, v2
	v_cvt_u32_f32_e32 v2, v2
	v_mul_lo_u32 v3, s30, v2
	v_mul_hi_u32 v3, v2, v3
	v_add_u32_e32 v2, v2, v3
	v_mul_hi_u32 v2, v6, v2
	v_mul_lo_u32 v3, v2, s28
	v_add_u32_e32 v8, 1, v2
	v_sub_u32_e32 v3, v6, v3
	v_subrev_u32_e32 v9, s28, v3
	v_cmp_le_u32_e32 vcc, s28, v3
	v_cndmask_b32_e32 v3, v3, v9, vcc
	v_cndmask_b32_e32 v2, v2, v8, vcc
	v_add_u32_e32 v8, 1, v2
	v_cmp_le_u32_e32 vcc, s28, v3
	v_cndmask_b32_e32 v70, v2, v8, vcc
.LBB0_6:                                ;   in Loop: Header=BB0_2 Depth=1
	s_or_b64 exec, exec, s[0:1]
	v_mul_lo_u32 v8, v71, s28
	v_mul_lo_u32 v9, v70, s29
	v_mad_u64_u32 v[2:3], s[0:1], v70, s28, 0
	s_load_dwordx2 s[0:1], s[22:23], 0x0
	s_load_dwordx2 s[28:29], s[6:7], 0x0
	v_add3_u32 v3, v3, v9, v8
	v_sub_co_u32_e32 v2, vcc, v6, v2
	v_subb_co_u32_e32 v3, vcc, v7, v3, vcc
	s_waitcnt lgkmcnt(0)
	v_mul_lo_u32 v6, s0, v3
	v_mul_lo_u32 v7, s1, v2
	v_mad_u64_u32 v[4:5], s[0:1], s0, v2, v[4:5]
	v_mul_lo_u32 v3, s28, v3
	v_mul_lo_u32 v8, s29, v2
	v_mad_u64_u32 v[68:69], s[0:1], s28, v2, v[68:69]
	s_add_u32 s26, s26, 1
	s_addc_u32 s27, s27, 0
	s_add_u32 s6, s6, 8
	v_add3_u32 v69, v8, v69, v3
	s_addc_u32 s7, s7, 0
	v_mov_b32_e32 v2, s10
	s_add_u32 s22, s22, 8
	v_mov_b32_e32 v3, s11
	s_addc_u32 s23, s23, 0
	v_cmp_ge_u64_e32 vcc, s[26:27], v[2:3]
	s_add_u32 s24, s24, 8
	v_add3_u32 v5, v7, v5, v6
	s_addc_u32 s25, s25, 0
	s_cbranch_vccnz .LBB0_9
; %bb.7:                                ;   in Loop: Header=BB0_2 Depth=1
	v_mov_b32_e32 v6, v70
	v_mov_b32_e32 v7, v71
	s_branch .LBB0_2
.LBB0_8:
	v_mov_b32_e32 v69, v5
	v_mov_b32_e32 v71, v7
	;; [unrolled: 1-line block ×4, first 2 shown]
.LBB0_9:
	s_load_dwordx2 s[0:1], s[4:5], 0x28
	s_lshl_b64 s[6:7], s[10:11], 3
	s_add_u32 s58, s18, s6
	s_addc_u32 s59, s19, s7
                                        ; implicit-def: $vgpr164
                                        ; implicit-def: $vgpr166
                                        ; implicit-def: $vgpr167
                                        ; implicit-def: $vgpr168
                                        ; implicit-def: $vgpr169
                                        ; implicit-def: $vgpr165
	s_waitcnt lgkmcnt(0)
	v_cmp_gt_u64_e32 vcc, s[0:1], v[70:71]
	v_cmp_le_u64_e64 s[0:1], s[0:1], v[70:71]
	s_and_saveexec_b64 s[4:5], s[0:1]
	s_xor_b64 s[0:1], exec, s[4:5]
; %bb.10:
	s_mov_b32 s4, 0x5050506
	v_mul_hi_u32 v1, v0, s4
                                        ; implicit-def: $vgpr4_vgpr5
	v_mul_u32_u24_e32 v1, 51, v1
	v_sub_u32_e32 v164, v0, v1
	v_add_u32_e32 v166, 51, v164
	v_add_u32_e32 v167, 0x66, v164
	;; [unrolled: 1-line block ×5, first 2 shown]
                                        ; implicit-def: $vgpr0
; %bb.11:
	s_or_saveexec_b64 s[4:5], s[0:1]
                                        ; implicit-def: $vgpr10_vgpr11
                                        ; implicit-def: $vgpr14_vgpr15
                                        ; implicit-def: $vgpr6_vgpr7
                                        ; implicit-def: $vgpr18_vgpr19
                                        ; implicit-def: $vgpr22_vgpr23
                                        ; implicit-def: $vgpr26_vgpr27
                                        ; implicit-def: $vgpr30_vgpr31
                                        ; implicit-def: $vgpr34_vgpr35
                                        ; implicit-def: $vgpr38_vgpr39
                                        ; implicit-def: $vgpr46_vgpr47
                                        ; implicit-def: $vgpr58_vgpr59
                                        ; implicit-def: $vgpr66_vgpr67
                                        ; implicit-def: $vgpr62_vgpr63
                                        ; implicit-def: $vgpr54_vgpr55
                                        ; implicit-def: $vgpr50_vgpr51
                                        ; implicit-def: $vgpr42_vgpr43
                                        ; implicit-def: $vgpr2_vgpr3
	s_xor_b64 exec, exec, s[4:5]
	s_cbranch_execz .LBB0_13
; %bb.12:
	s_add_u32 s0, s16, s6
	s_mov_b32 s6, 0x5050506
	s_addc_u32 s1, s17, s7
	v_mul_hi_u32 v1, v0, s6
	s_load_dwordx2 s[0:1], s[0:1], 0x0
	v_mul_u32_u24_e32 v1, 51, v1
	v_sub_u32_e32 v164, v0, v1
	s_waitcnt lgkmcnt(0)
	v_mul_lo_u32 v8, s1, v70
	v_mad_u64_u32 v[0:1], s[6:7], s20, v164, 0
	v_mul_lo_u32 v9, s0, v71
	v_mad_u64_u32 v[2:3], s[0:1], s0, v70, 0
	v_add_u32_e32 v166, 51, v164
	v_add_u32_e32 v167, 0x66, v164
	v_mad_u64_u32 v[6:7], s[0:1], s21, v164, v[1:2]
	v_add3_u32 v3, v3, v9, v8
	v_lshlrev_b64 v[2:3], 4, v[2:3]
	v_mov_b32_e32 v1, v6
	v_mov_b32_e32 v6, s13
	v_add_co_u32_e64 v7, s[0:1], s12, v2
	v_addc_co_u32_e64 v6, s[0:1], v6, v3, s[0:1]
	v_lshlrev_b64 v[2:3], 4, v[4:5]
	v_mad_u64_u32 v[4:5], s[0:1], s20, v166, 0
	v_add_co_u32_e64 v16, s[0:1], v7, v2
	v_mov_b32_e32 v2, v5
	v_addc_co_u32_e64 v17, s[0:1], v6, v3, s[0:1]
	v_mad_u64_u32 v[2:3], s[0:1], s21, v166, v[2:3]
	v_mad_u64_u32 v[6:7], s[0:1], s20, v167, 0
	v_lshlrev_b64 v[0:1], 4, v[0:1]
	v_mov_b32_e32 v5, v2
	v_add_co_u32_e64 v8, s[0:1], v16, v0
	v_mov_b32_e32 v2, v7
	v_addc_co_u32_e64 v9, s[0:1], v17, v1, s[0:1]
	v_mad_u64_u32 v[2:3], s[0:1], s21, v167, v[2:3]
	v_add_u32_e32 v168, 0x99, v164
	v_lshlrev_b64 v[0:1], 4, v[4:5]
	v_mad_u64_u32 v[3:4], s[0:1], s20, v168, 0
	v_add_co_u32_e64 v10, s[0:1], v16, v0
	v_mov_b32_e32 v7, v2
	v_mov_b32_e32 v2, v4
	v_addc_co_u32_e64 v11, s[0:1], v17, v1, s[0:1]
	v_mad_u64_u32 v[4:5], s[0:1], s21, v168, v[2:3]
	v_add_u32_e32 v169, 0xcc, v164
	v_lshlrev_b64 v[0:1], 4, v[6:7]
	v_mad_u64_u32 v[5:6], s[0:1], s20, v169, 0
	v_add_co_u32_e64 v12, s[0:1], v16, v0
	v_mov_b32_e32 v2, v6
	v_addc_co_u32_e64 v13, s[0:1], v17, v1, s[0:1]
	v_lshlrev_b64 v[0:1], 4, v[3:4]
	v_mad_u64_u32 v[2:3], s[0:1], s21, v169, v[2:3]
	v_add_u32_e32 v165, 0xff, v164
	v_mad_u64_u32 v[3:4], s[0:1], s20, v165, 0
	v_add_co_u32_e64 v14, s[0:1], v16, v0
	v_mov_b32_e32 v6, v2
	v_mov_b32_e32 v2, v4
	v_addc_co_u32_e64 v15, s[0:1], v17, v1, s[0:1]
	v_lshlrev_b64 v[0:1], 4, v[5:6]
	v_mad_u64_u32 v[4:5], s[0:1], s21, v165, v[2:3]
	v_add_u32_e32 v7, 0x132, v164
	v_mad_u64_u32 v[5:6], s[0:1], s20, v7, 0
	v_add_co_u32_e64 v72, s[0:1], v16, v0
	v_mov_b32_e32 v2, v6
	v_addc_co_u32_e64 v73, s[0:1], v17, v1, s[0:1]
	v_lshlrev_b64 v[0:1], 4, v[3:4]
	v_mad_u64_u32 v[2:3], s[0:1], s21, v7, v[2:3]
	v_add_u32_e32 v7, 0x165, v164
	v_mad_u64_u32 v[3:4], s[0:1], s20, v7, 0
	v_add_co_u32_e64 v74, s[0:1], v16, v0
	v_mov_b32_e32 v6, v2
	v_mov_b32_e32 v2, v4
	v_addc_co_u32_e64 v75, s[0:1], v17, v1, s[0:1]
	v_lshlrev_b64 v[0:1], 4, v[5:6]
	v_mad_u64_u32 v[4:5], s[0:1], s21, v7, v[2:3]
	v_add_u32_e32 v7, 0x198, v164
	v_mad_u64_u32 v[5:6], s[0:1], s20, v7, 0
	v_add_co_u32_e64 v76, s[0:1], v16, v0
	v_mov_b32_e32 v2, v6
	v_addc_co_u32_e64 v77, s[0:1], v17, v1, s[0:1]
	v_lshlrev_b64 v[0:1], 4, v[3:4]
	v_mad_u64_u32 v[2:3], s[0:1], s21, v7, v[2:3]
	v_add_u32_e32 v7, 0x1cb, v164
	v_mad_u64_u32 v[3:4], s[0:1], s20, v7, 0
	v_add_co_u32_e64 v78, s[0:1], v16, v0
	v_mov_b32_e32 v6, v2
	v_mov_b32_e32 v2, v4
	v_addc_co_u32_e64 v79, s[0:1], v17, v1, s[0:1]
	v_lshlrev_b64 v[0:1], 4, v[5:6]
	v_mad_u64_u32 v[4:5], s[0:1], s21, v7, v[2:3]
	v_add_u32_e32 v7, 0x1fe, v164
	v_mad_u64_u32 v[5:6], s[0:1], s20, v7, 0
	v_add_co_u32_e64 v80, s[0:1], v16, v0
	v_mov_b32_e32 v2, v6
	v_addc_co_u32_e64 v81, s[0:1], v17, v1, s[0:1]
	v_lshlrev_b64 v[0:1], 4, v[3:4]
	v_mad_u64_u32 v[2:3], s[0:1], s21, v7, v[2:3]
	v_add_u32_e32 v7, 0x231, v164
	v_mad_u64_u32 v[3:4], s[0:1], s20, v7, 0
	v_add_co_u32_e64 v82, s[0:1], v16, v0
	v_mov_b32_e32 v6, v2
	v_mov_b32_e32 v2, v4
	v_addc_co_u32_e64 v83, s[0:1], v17, v1, s[0:1]
	v_lshlrev_b64 v[0:1], 4, v[5:6]
	v_mad_u64_u32 v[4:5], s[0:1], s21, v7, v[2:3]
	v_add_u32_e32 v7, 0x264, v164
	v_mad_u64_u32 v[5:6], s[0:1], s20, v7, 0
	v_add_co_u32_e64 v84, s[0:1], v16, v0
	v_mov_b32_e32 v2, v6
	v_addc_co_u32_e64 v85, s[0:1], v17, v1, s[0:1]
	v_lshlrev_b64 v[0:1], 4, v[3:4]
	v_mad_u64_u32 v[2:3], s[0:1], s21, v7, v[2:3]
	v_add_u32_e32 v7, 0x297, v164
	v_mad_u64_u32 v[3:4], s[0:1], s20, v7, 0
	v_add_co_u32_e64 v86, s[0:1], v16, v0
	v_mov_b32_e32 v6, v2
	v_mov_b32_e32 v2, v4
	v_addc_co_u32_e64 v87, s[0:1], v17, v1, s[0:1]
	v_lshlrev_b64 v[0:1], 4, v[5:6]
	v_mad_u64_u32 v[4:5], s[0:1], s21, v7, v[2:3]
	v_add_u32_e32 v7, 0x2ca, v164
	v_mad_u64_u32 v[5:6], s[0:1], s20, v7, 0
	v_add_co_u32_e64 v88, s[0:1], v16, v0
	v_mov_b32_e32 v2, v6
	v_addc_co_u32_e64 v89, s[0:1], v17, v1, s[0:1]
	v_lshlrev_b64 v[0:1], 4, v[3:4]
	v_mad_u64_u32 v[2:3], s[0:1], s21, v7, v[2:3]
	v_add_u32_e32 v7, 0x2fd, v164
	v_mad_u64_u32 v[3:4], s[0:1], s20, v7, 0
	v_add_co_u32_e64 v90, s[0:1], v16, v0
	v_mov_b32_e32 v6, v2
	v_mov_b32_e32 v2, v4
	v_addc_co_u32_e64 v91, s[0:1], v17, v1, s[0:1]
	v_lshlrev_b64 v[0:1], 4, v[5:6]
	v_mad_u64_u32 v[4:5], s[0:1], s21, v7, v[2:3]
	v_add_u32_e32 v7, 0x330, v164
	v_mad_u64_u32 v[5:6], s[0:1], s20, v7, 0
	v_add_co_u32_e64 v92, s[0:1], v16, v0
	v_mov_b32_e32 v2, v6
	v_addc_co_u32_e64 v93, s[0:1], v17, v1, s[0:1]
	v_lshlrev_b64 v[0:1], 4, v[3:4]
	v_mad_u64_u32 v[2:3], s[0:1], s21, v7, v[2:3]
	v_add_co_u32_e64 v94, s[0:1], v16, v0
	v_mov_b32_e32 v6, v2
	v_addc_co_u32_e64 v95, s[0:1], v17, v1, s[0:1]
	v_lshlrev_b64 v[0:1], 4, v[5:6]
	v_add_co_u32_e64 v96, s[0:1], v16, v0
	v_addc_co_u32_e64 v97, s[0:1], v17, v1, s[0:1]
	global_load_dwordx4 v[0:3], v[8:9], off
	global_load_dwordx4 v[40:43], v[10:11], off
	;; [unrolled: 1-line block ×15, first 2 shown]
                                        ; kill: killed $vgpr82 killed $vgpr83
                                        ; kill: killed $vgpr14 killed $vgpr15
                                        ; kill: killed $vgpr84 killed $vgpr85
                                        ; kill: killed $vgpr86 killed $vgpr87
                                        ; kill: killed $vgpr88 killed $vgpr89
                                        ; kill: killed $vgpr12 killed $vgpr13
                                        ; kill: killed $vgpr8 killed $vgpr9
                                        ; kill: killed $vgpr90 killed $vgpr91
                                        ; kill: killed $vgpr74 killed $vgpr75
                                        ; kill: killed $vgpr92 killed $vgpr93
                                        ; kill: killed $vgpr76 killed $vgpr77
                                        ; kill: killed $vgpr10 killed $vgpr11
                                        ; kill: killed $vgpr78 killed $vgpr79
                                        ; kill: killed $vgpr72 killed $vgpr73
                                        ; kill: killed $vgpr80 killed $vgpr81
	global_load_dwordx4 v[12:15], v[94:95], off
	global_load_dwordx4 v[8:11], v[96:97], off
.LBB0_13:
	s_or_b64 exec, exec, s[4:5]
	s_waitcnt vmcnt(15)
	v_add_f64 v[72:73], v[40:41], v[0:1]
	v_add_f64 v[74:75], v[42:43], v[2:3]
	s_waitcnt vmcnt(5)
	v_add_f64 v[92:93], v[24:25], v[56:57]
	v_add_f64 v[80:81], v[26:27], v[58:59]
	v_add_f64 v[82:83], v[56:57], -v[24:25]
	v_add_f64 v[104:105], v[58:59], -v[26:27]
	v_add_f64 v[90:91], v[28:29], v[44:45]
	v_add_f64 v[102:103], v[46:47], -v[30:31]
	v_add_f64 v[76:77], v[48:49], v[72:73]
	v_add_f64 v[78:79], v[50:51], v[74:75]
	;; [unrolled: 1-line block ×4, first 2 shown]
	v_add_f64 v[74:75], v[36:37], -v[32:33]
	v_add_f64 v[100:101], v[38:39], -v[34:35]
	s_waitcnt vmcnt(4)
	v_add_f64 v[94:95], v[20:21], v[64:65]
	v_add_f64 v[106:107], v[66:67], -v[22:23]
	v_add_f64 v[84:85], v[52:53], v[76:77]
	v_add_f64 v[86:87], v[54:55], v[78:79]
	;; [unrolled: 1-line block ×3, first 2 shown]
	v_add_f64 v[78:79], v[44:45], -v[28:29]
	s_waitcnt vmcnt(3)
	v_add_f64 v[96:97], v[16:17], v[60:61]
	s_waitcnt vmcnt(2)
	v_add_f64 v[114:115], v[54:55], -v[6:7]
	s_waitcnt vmcnt(1)
	v_add_f64 v[116:117], v[50:51], -v[14:15]
	s_mov_b32 s26, 0x5d8e7cdc
	v_add_f64 v[98:99], v[60:61], v[84:85]
	v_add_f64 v[108:109], v[62:63], v[86:87]
	v_add_f64 v[84:85], v[22:23], v[66:67]
	v_add_f64 v[86:87], v[64:65], -v[20:21]
	v_add_f64 v[60:61], v[60:61], -v[16:17]
	s_mov_b32 s22, 0x2a9d6da3
	s_mov_b32 s6, 0x7c9e640b
	;; [unrolled: 1-line block ×3, first 2 shown]
	v_add_f64 v[98:99], v[64:65], v[98:99]
	v_add_f64 v[110:111], v[66:67], v[108:109]
	;; [unrolled: 1-line block ×3, first 2 shown]
	v_add_f64 v[108:109], v[62:63], -v[18:19]
	v_add_f64 v[66:67], v[4:5], v[52:53]
	v_add_f64 v[62:63], v[6:7], v[54:55]
	v_add_f64 v[52:53], v[52:53], -v[4:5]
	v_add_f64 v[54:55], v[14:15], v[50:51]
	v_add_f64 v[56:57], v[56:57], v[98:99]
	;; [unrolled: 1-line block ×3, first 2 shown]
	s_waitcnt vmcnt(0)
	v_add_f64 v[50:51], v[8:9], v[40:41]
	v_add_f64 v[40:41], v[40:41], -v[8:9]
	s_mov_b32 s10, 0x923c349f
	s_mov_b32 s16, 0x6c9a05f6
	;; [unrolled: 1-line block ×4, first 2 shown]
	v_add_f64 v[44:45], v[44:45], v[56:57]
	v_add_f64 v[46:47], v[46:47], v[58:59]
	v_add_f64 v[56:57], v[10:11], v[42:43]
	v_add_f64 v[42:43], v[42:43], -v[10:11]
	s_mov_b32 s27, 0xbfd71e95
	s_mov_b32 s23, 0xbfe58eea
	;; [unrolled: 1-line block ×4, first 2 shown]
	v_add_f64 v[36:37], v[36:37], v[44:45]
	v_add_f64 v[38:39], v[38:39], v[46:47]
	s_mov_b32 s11, 0xbfeec746
	s_mov_b32 s17, 0xbfe9895b
	;; [unrolled: 1-line block ×6, first 2 shown]
	v_add_f64 v[32:33], v[32:33], v[36:37]
	v_add_f64 v[34:35], v[34:35], v[38:39]
	v_mul_f64 v[36:37], v[42:43], s[30:31]
	v_mul_f64 v[38:39], v[40:41], s[22:23]
	s_mov_b32 s18, 0x2b2883cd
	s_mov_b32 s12, 0x3259b75e
	s_mov_b32 s20, 0xc61f0d01
	s_mov_b32 s28, 0x6ed5f1bb
	v_add_f64 v[28:29], v[28:29], v[32:33]
	v_add_f64 v[30:31], v[30:31], v[34:35]
	v_mul_f64 v[32:33], v[42:43], s[10:11]
	v_mul_f64 v[34:35], v[42:43], s[16:17]
	s_mov_b32 s36, 0x910ea3b9
	s_mov_b32 s40, 0x7faef3
	s_mov_b32 s35, 0x3fedd6d0
	s_mov_b32 s25, 0x3fe7a5f6
	;; [unrolled: 8-line block ×3, first 2 shown]
	v_add_f64 v[20:21], v[20:21], v[24:25]
	v_add_f64 v[22:23], v[22:23], v[26:27]
	v_mul_f64 v[24:25], v[42:43], s[22:23]
	v_mul_f64 v[26:27], v[42:43], s[6:7]
	s_mov_b32 s37, 0xbfeb34fa
	s_mov_b32 s41, 0xbfef7484
	v_add_f64 v[98:99], v[12:13], v[48:49]
	v_add_f64 v[48:49], v[48:49], -v[12:13]
	v_add_f64 v[16:17], v[16:17], v[20:21]
	v_add_f64 v[18:19], v[18:19], v[22:23]
	v_mul_f64 v[20:21], v[42:43], s[38:39]
	v_mul_f64 v[22:23], v[40:41], s[26:27]
	;; [unrolled: 1-line block ×3, first 2 shown]
	v_fma_f64 v[44:45], v[50:51], s[34:35], v[28:29]
	v_fma_f64 v[28:29], v[50:51], s[34:35], -v[28:29]
	v_fma_f64 v[110:111], v[50:51], s[12:13], v[30:31]
	v_add_f64 v[4:5], v[4:5], v[16:17]
	v_add_f64 v[6:7], v[6:7], v[18:19]
	v_fma_f64 v[16:17], v[50:51], s[24:25], v[24:25]
	v_fma_f64 v[18:19], v[50:51], s[24:25], -v[24:25]
	v_fma_f64 v[24:25], v[50:51], s[18:19], v[26:27]
	v_fma_f64 v[26:27], v[50:51], s[18:19], -v[26:27]
	v_fma_f64 v[30:31], v[50:51], s[12:13], -v[30:31]
	v_fma_f64 v[118:119], v[50:51], s[28:29], v[34:35]
	v_add_f64 v[4:5], v[12:13], v[4:5]
	v_add_f64 v[6:7], v[14:15], v[6:7]
	v_fma_f64 v[12:13], v[50:51], s[20:21], v[32:33]
	v_fma_f64 v[32:33], v[50:51], s[20:21], -v[32:33]
	v_fma_f64 v[34:35], v[50:51], s[28:29], -v[34:35]
	v_fma_f64 v[122:123], v[50:51], s[36:37], v[36:37]
	v_fma_f64 v[36:37], v[50:51], s[36:37], -v[36:37]
	v_fma_f64 v[14:15], v[56:57], s[34:35], v[22:23]
	v_add_f64 v[124:125], v[8:9], v[4:5]
	v_add_f64 v[58:59], v[10:11], v[6:7]
	v_fma_f64 v[6:7], v[50:51], s[40:41], v[20:21]
	v_fma_f64 v[10:11], v[50:51], s[40:41], -v[20:21]
	v_fma_f64 v[4:5], v[56:57], s[34:35], -v[22:23]
	v_fma_f64 v[20:21], v[56:57], s[24:25], -v[38:39]
	v_fma_f64 v[22:23], v[56:57], s[24:25], v[38:39]
	v_fma_f64 v[38:39], v[56:57], s[18:19], -v[42:43]
	v_fma_f64 v[46:47], v[56:57], s[18:19], v[42:43]
	v_mul_f64 v[8:9], v[40:41], s[4:5]
	v_mul_f64 v[42:43], v[40:41], s[10:11]
	;; [unrolled: 1-line block ×5, first 2 shown]
	v_add_f64 v[146:147], v[0:1], v[16:17]
	v_add_f64 v[16:17], v[0:1], v[18:19]
	v_mul_f64 v[18:19], v[116:117], s[22:23]
	v_fma_f64 v[120:121], v[56:57], s[12:13], -v[8:9]
	v_fma_f64 v[126:127], v[56:57], s[12:13], v[8:9]
	v_fma_f64 v[128:129], v[56:57], s[20:21], -v[42:43]
	v_fma_f64 v[138:139], v[56:57], s[36:37], v[112:113]
	v_fma_f64 v[140:141], v[56:57], s[40:41], -v[40:41]
	v_fma_f64 v[130:131], v[56:57], s[20:21], v[42:43]
	v_fma_f64 v[132:133], v[56:57], s[28:29], -v[50:51]
	v_fma_f64 v[134:135], v[56:57], s[28:29], v[50:51]
	v_fma_f64 v[136:137], v[56:57], s[36:37], -v[112:113]
	v_fma_f64 v[142:143], v[56:57], s[40:41], v[40:41]
	v_add_f64 v[144:145], v[0:1], v[44:45]
	v_add_f64 v[8:9], v[0:1], v[28:29]
	;; [unrolled: 1-line block ×19, first 2 shown]
	v_fma_f64 v[0:1], v[98:99], s[24:25], v[18:19]
	v_mul_f64 v[20:21], v[114:115], s[6:7]
	v_add_f64 v[4:5], v[2:3], v[4:5]
	v_add_f64 v[44:45], v[2:3], v[22:23]
	;; [unrolled: 1-line block ×12, first 2 shown]
	v_fma_f64 v[2:3], v[66:67], s[18:19], v[20:21]
	v_mul_f64 v[12:13], v[108:109], s[4:5]
	v_mul_f64 v[10:11], v[106:107], s[10:11]
	;; [unrolled: 1-line block ×4, first 2 shown]
	s_movk_i32 s0, 0x88
	v_mad_u32_u24 v170, v164, s0, 0
	v_mul_f64 v[130:131], v[114:115], s[16:17]
	v_add_f64 v[0:1], v[2:3], v[0:1]
	v_fma_f64 v[2:3], v[96:97], s[12:13], v[12:13]
	s_mov_b32 s45, 0x3fc7851a
	s_mov_b32 s44, s38
	s_mov_b32 s43, 0x3feec746
	s_mov_b32 s42, s10
	s_mov_b32 s47, 0x3fe0d888
	v_fma_f64 v[132:133], v[66:67], s[28:29], v[130:131]
	s_mov_b32 s46, s30
	v_add_f64 v[0:1], v[2:3], v[0:1]
	v_fma_f64 v[2:3], v[94:95], s[20:21], v[10:11]
	s_mov_b32 s49, 0x3fe58eea
	s_mov_b32 s48, s22
	v_mul_f64 v[150:151], v[104:105], s[42:43]
	v_mul_f64 v[152:153], v[104:105], s[26:27]
	s_mov_b32 s51, 0x3feca52d
	s_mov_b32 s50, s6
	v_mul_f64 v[154:155], v[102:103], s[50:51]
	v_add_f64 v[0:1], v[2:3], v[0:1]
	v_fma_f64 v[2:3], v[92:93], s[28:29], v[6:7]
	v_mul_f64 v[156:157], v[102:103], s[4:5]
	s_mov_b32 s53, 0x3fd71e95
	s_mov_b32 s52, s26
	;; [unrolled: 1-line block ×6, first 2 shown]
	v_add_f64 v[0:1], v[2:3], v[0:1]
	v_mul_f64 v[2:3], v[102:103], s[30:31]
	v_fma_f64 v[18:19], v[98:99], s[24:25], -v[18:19]
	v_fma_f64 v[12:13], v[96:97], s[12:13], -v[12:13]
	;; [unrolled: 1-line block ×4, first 2 shown]
	s_movk_i32 s0, 0xf1
	v_fma_f64 v[122:123], v[90:91], s[36:37], v[2:3]
	v_add_f64 v[8:9], v[18:19], v[8:9]
	v_fma_f64 v[18:19], v[66:67], s[18:19], -v[20:21]
	v_fma_f64 v[2:3], v[90:91], s[36:37], -v[2:3]
	v_add_f64 v[122:123], v[122:123], v[0:1]
	v_mul_f64 v[0:1], v[100:101], s[38:39]
	v_add_f64 v[8:9], v[18:19], v[8:9]
	v_fma_f64 v[126:127], v[88:89], s[40:41], v[0:1]
	v_add_f64 v[8:9], v[12:13], v[8:9]
	v_fma_f64 v[0:1], v[88:89], s[40:41], -v[0:1]
	v_add_f64 v[122:123], v[126:127], v[122:123]
	v_mul_f64 v[126:127], v[116:117], s[16:17]
	v_add_f64 v[8:9], v[10:11], v[8:9]
	ds_write2_b64 v170, v[124:125], v[122:123] offset1:1
	v_fma_f64 v[122:123], v[98:99], s[12:13], v[128:129]
	v_fma_f64 v[124:125], v[98:99], s[28:29], v[126:127]
	v_add_f64 v[6:7], v[6:7], v[8:9]
	v_add_f64 v[122:123], v[122:123], v[146:147]
	;; [unrolled: 1-line block ×3, first 2 shown]
	v_mul_f64 v[148:149], v[106:107], s[48:49]
	v_add_f64 v[2:3], v[2:3], v[6:7]
	v_add_f64 v[122:123], v[132:133], v[122:123]
	v_mul_f64 v[132:133], v[114:115], s[44:45]
	v_add_f64 v[0:1], v[0:1], v[2:3]
	v_fma_f64 v[134:135], v[66:67], s[40:41], v[132:133]
	v_add_f64 v[124:125], v[134:135], v[124:125]
	v_mul_f64 v[134:135], v[108:109], s[38:39]
	v_fma_f64 v[136:137], v[96:97], s[40:41], v[134:135]
	v_add_f64 v[122:123], v[136:137], v[122:123]
	v_mul_f64 v[136:137], v[108:109], s[42:43]
	;; [unrolled: 3-line block ×3, first 2 shown]
	v_fma_f64 v[144:145], v[94:95], s[36:37], v[142:143]
	v_add_f64 v[122:123], v[144:145], v[122:123]
	v_fma_f64 v[144:145], v[94:95], s[24:25], v[148:149]
	v_add_f64 v[124:125], v[144:145], v[124:125]
	;; [unrolled: 2-line block ×6, first 2 shown]
	v_mul_f64 v[122:123], v[100:101], s[52:53]
	v_fma_f64 v[124:125], v[88:89], s[34:35], v[122:123]
	v_add_f64 v[144:145], v[124:125], v[144:145]
	v_mul_f64 v[124:125], v[100:101], s[30:31]
	v_fma_f64 v[173:174], v[88:89], s[36:37], v[124:125]
	v_add_f64 v[146:147], v[173:174], v[146:147]
	v_mul_f64 v[173:174], v[116:117], s[38:39]
	ds_write2_b64 v170, v[144:145], v[146:147] offset0:2 offset1:3
	v_fma_f64 v[144:145], v[98:99], s[40:41], v[173:174]
	v_add_f64 v[144:145], v[144:145], v[158:159]
	v_mul_f64 v[158:159], v[116:117], s[46:47]
	v_fma_f64 v[146:147], v[98:99], s[36:37], v[158:159]
	v_add_f64 v[146:147], v[146:147], v[160:161]
	v_mul_f64 v[160:161], v[114:115], s[42:43]
	;; [unrolled: 3-line block ×15, first 2 shown]
	v_mul_f64 v[116:117], v[116:117], s[52:53]
	v_fma_f64 v[201:202], v[98:99], s[18:19], v[199:200]
	v_add_f64 v[171:172], v[201:202], v[171:172]
	v_mul_f64 v[201:202], v[114:115], s[26:27]
	v_fma_f64 v[203:204], v[66:67], s[34:35], v[201:202]
	v_add_f64 v[162:163], v[203:204], v[162:163]
	v_mul_f64 v[203:204], v[114:115], s[4:5]
	v_mul_f64 v[114:115], v[114:115], s[30:31]
	v_fma_f64 v[205:206], v[66:67], s[12:13], v[203:204]
	v_add_f64 v[171:172], v[205:206], v[171:172]
	v_mul_f64 v[205:206], v[108:109], s[30:31]
	v_fma_f64 v[207:208], v[96:97], s[36:37], v[205:206]
	v_add_f64 v[162:163], v[207:208], v[162:163]
	v_mul_f64 v[207:208], v[108:109], s[56:57]
	;; [unrolled: 7-line block ×6, first 2 shown]
	v_mul_f64 v[100:101], v[100:101], s[54:55]
	v_fma_f64 v[225:226], v[88:89], s[20:21], v[223:224]
	v_add_f64 v[171:172], v[225:226], v[171:172]
	v_fma_f64 v[225:226], v[98:99], s[34:35], v[116:117]
	v_fma_f64 v[116:117], v[98:99], s[34:35], -v[116:117]
	v_add_f64 v[138:139], v[225:226], v[138:139]
	v_add_f64 v[116:117], v[116:117], v[140:141]
	v_fma_f64 v[140:141], v[66:67], s[36:37], v[114:115]
	v_fma_f64 v[114:115], v[66:67], s[36:37], -v[114:115]
	v_add_f64 v[138:139], v[140:141], v[138:139]
	;; [unrolled: 4-line block ×4, first 2 shown]
	v_add_f64 v[106:107], v[106:107], v[108:109]
	v_fma_f64 v[108:109], v[92:93], s[18:19], v[104:105]
	v_fma_f64 v[104:105], v[92:93], s[18:19], -v[104:105]
	v_mul_f64 v[116:117], v[60:61], s[4:5]
	v_add_f64 v[108:109], v[108:109], v[114:115]
	v_add_f64 v[104:105], v[104:105], v[106:107]
	v_fma_f64 v[106:107], v[90:91], s[20:21], v[102:103]
	v_fma_f64 v[102:103], v[90:91], s[20:21], -v[102:103]
	v_mul_f64 v[114:115], v[52:53], s[6:7]
	v_fma_f64 v[12:13], v[64:65], s[12:13], -v[116:117]
	v_add_f64 v[106:107], v[106:107], v[108:109]
	v_add_f64 v[102:103], v[102:103], v[104:105]
	v_fma_f64 v[104:105], v[88:89], s[12:13], v[100:101]
	v_fma_f64 v[100:101], v[88:89], s[12:13], -v[100:101]
	v_fma_f64 v[108:109], v[66:67], s[34:35], -v[201:202]
	;; [unrolled: 1-line block ×3, first 2 shown]
	v_add_f64 v[104:105], v[104:105], v[106:107]
	v_add_f64 v[100:101], v[100:101], v[102:103]
	v_fma_f64 v[102:103], v[98:99], s[20:21], -v[197:198]
	v_fma_f64 v[106:107], v[98:99], s[18:19], -v[199:200]
	v_add_f64 v[102:103], v[102:103], v[120:121]
	v_add_f64 v[106:107], v[106:107], v[118:119]
	v_mul_f64 v[118:119], v[86:87], s[10:11]
	v_mul_f64 v[120:121], v[82:83], s[16:17]
	v_add_f64 v[102:103], v[108:109], v[102:103]
	v_fma_f64 v[108:109], v[66:67], s[12:13], -v[203:204]
	v_fma_f64 v[10:11], v[84:85], s[20:21], -v[118:119]
	;; [unrolled: 1-line block ×3, first 2 shown]
	v_add_f64 v[106:107], v[108:109], v[106:107]
	v_fma_f64 v[108:109], v[96:97], s[36:37], -v[205:206]
	v_add_f64 v[102:103], v[108:109], v[102:103]
	v_fma_f64 v[108:109], v[96:97], s[28:29], -v[207:208]
	;; [unrolled: 2-line block ×11, first 2 shown]
	v_lshl_add_u32 v173, v167, 3, 0
	v_lshl_add_u32 v174, v168, 3, 0
	v_add_f64 v[108:109], v[108:109], v[112:113]
	v_fma_f64 v[112:113], v[98:99], s[36:37], -v[158:159]
	v_add_f64 v[110:111], v[112:113], v[110:111]
	v_fma_f64 v[112:113], v[66:67], s[20:21], -v[160:161]
	;; [unrolled: 2-line block ×3, first 2 shown]
	v_lshlrev_b32_e32 v176, 7, v164
	v_lshl_add_u32 v175, v169, 3, 0
	v_add_f64 v[110:111], v[112:113], v[110:111]
	v_fma_f64 v[112:113], v[96:97], s[34:35], -v[177:178]
	v_sub_u32_e32 v178, v170, v176
	v_add_u32_e32 v177, 0x800, v178
	v_add_f64 v[108:109], v[112:113], v[108:109]
	v_fma_f64 v[112:113], v[96:97], s[18:19], -v[179:180]
	v_add_u32_e32 v179, 0xc00, v178
	v_add_u32_e32 v180, 0x1000, v178
	v_add_f64 v[110:111], v[112:113], v[110:111]
	v_fma_f64 v[112:113], v[94:95], s[18:19], -v[181:182]
	v_add_f64 v[108:109], v[112:113], v[108:109]
	v_fma_f64 v[112:113], v[94:95], s[40:41], -v[183:184]
	;; [unrolled: 2-line block ×10, first 2 shown]
	v_fma_f64 v[98:99], v[90:91], s[12:13], -v[156:157]
	v_mul_f64 v[126:127], v[78:79], s[30:31]
	v_add_f64 v[14:15], v[112:113], v[14:15]
	v_fma_f64 v[112:113], v[66:67], s[28:29], -v[130:131]
	v_fma_f64 v[6:7], v[76:77], s[36:37], -v[126:127]
	v_add_f64 v[16:17], v[112:113], v[16:17]
	v_fma_f64 v[112:113], v[66:67], s[40:41], -v[132:133]
	v_add_f64 v[14:15], v[112:113], v[14:15]
	;; [unrolled: 2-line block ×9, first 2 shown]
	v_add_f64 v[16:17], v[112:113], v[16:17]
	v_mul_f64 v[112:113], v[48:49], s[22:23]
	v_mul_f64 v[98:99], v[74:75], s[38:39]
	v_fma_f64 v[20:21], v[54:55], s[24:25], -v[112:113]
	v_fma_f64 v[112:113], v[54:55], s[24:25], v[112:113]
	v_add_f64 v[4:5], v[20:21], v[4:5]
	v_add_f64 v[42:43], v[112:113], v[42:43]
	v_mul_f64 v[112:113], v[48:49], s[50:51]
	v_add_f64 v[4:5], v[18:19], v[4:5]
	v_fma_f64 v[142:143], v[54:55], s[18:19], -v[112:113]
	v_fma_f64 v[112:113], v[54:55], s[18:19], v[112:113]
	v_add_f64 v[4:5], v[12:13], v[4:5]
	v_add_f64 v[30:31], v[142:143], v[30:31]
	;; [unrolled: 1-line block ×4, first 2 shown]
	v_fma_f64 v[10:11], v[88:89], s[36:37], -v[124:125]
	v_add_f64 v[4:5], v[8:9], v[4:5]
	v_fma_f64 v[8:9], v[88:89], s[34:35], -v[122:123]
	v_add_f64 v[10:11], v[10:11], v[14:15]
	v_add_f64 v[4:5], v[6:7], v[4:5]
	v_fma_f64 v[6:7], v[72:73], s[40:41], -v[98:99]
	v_add_f64 v[8:9], v[8:9], v[16:17]
	ds_write2_b64 v170, v[144:145], v[146:147] offset0:4 offset1:5
	ds_write2_b64 v170, v[162:163], v[171:172] offset0:6 offset1:7
	ds_write2_b64 v170, v[104:105], v[100:101] offset0:8 offset1:9
	ds_write2_b64 v170, v[106:107], v[102:103] offset0:10 offset1:11
	ds_write2_b64 v170, v[110:111], v[108:109] offset0:12 offset1:13
	ds_write2_b64 v170, v[10:11], v[8:9] offset0:14 offset1:15
	v_lshl_add_u32 v172, v166, 3, 0
	ds_write_b64 v170, v[0:1] offset:128
	s_load_dwordx2 s[58:59], s[58:59], 0x0
	v_add_f64 v[100:101], v[6:7], v[4:5]
	s_waitcnt lgkmcnt(0)
	; wave barrier
	s_waitcnt lgkmcnt(0)
	v_lshl_add_u32 v171, v165, 3, 0
	ds_read_b64 v[90:91], v172
	ds_read_b64 v[88:89], v173
	;; [unrolled: 1-line block ×4, first 2 shown]
	ds_read_b64 v[92:93], v178 offset:6528
	ds_read_b64 v[20:21], v178
	ds_read_b64 v[66:67], v171
	ds_read2_b64 v[16:19], v177 offset0:50 offset1:101
	ds_read2_b64 v[12:15], v177 offset0:152 offset1:203
	;; [unrolled: 1-line block ×5, first 2 shown]
	s_waitcnt lgkmcnt(0)
	; wave barrier
	s_waitcnt lgkmcnt(0)
	ds_write2_b64 v170, v[58:59], v[100:101] offset1:1
	v_mul_f64 v[58:59], v[48:49], s[4:5]
	v_fma_f64 v[100:101], v[54:55], s[12:13], -v[58:59]
	v_fma_f64 v[58:59], v[54:55], s[12:13], v[58:59]
	v_add_f64 v[56:57], v[100:101], v[56:57]
	v_mul_f64 v[100:101], v[48:49], s[16:17]
	v_add_f64 v[44:45], v[58:59], v[44:45]
	v_fma_f64 v[102:103], v[54:55], s[28:29], -v[100:101]
	v_fma_f64 v[58:59], v[54:55], s[28:29], v[100:101]
	v_add_f64 v[50:51], v[102:103], v[50:51]
	v_mul_f64 v[102:103], v[52:53], s[16:17]
	v_add_f64 v[46:47], v[58:59], v[46:47]
	v_mul_f64 v[58:59], v[48:49], s[38:39]
	v_fma_f64 v[104:105], v[62:63], s[28:29], -v[102:103]
	v_fma_f64 v[100:101], v[54:55], s[40:41], -v[58:59]
	v_fma_f64 v[58:59], v[54:55], s[40:41], v[58:59]
	v_add_f64 v[56:57], v[104:105], v[56:57]
	v_mul_f64 v[104:105], v[52:53], s[44:45]
	v_add_f64 v[40:41], v[100:101], v[40:41]
	v_add_f64 v[38:39], v[58:59], v[38:39]
	v_mul_f64 v[58:59], v[48:49], s[46:47]
	v_mul_f64 v[100:101], v[48:49], s[42:43]
	;; [unrolled: 1-line block ×3, first 2 shown]
	v_fma_f64 v[106:107], v[62:63], s[40:41], -v[104:105]
	v_fma_f64 v[140:141], v[54:55], s[20:21], -v[100:101]
	;; [unrolled: 1-line block ×3, first 2 shown]
	v_fma_f64 v[48:49], v[54:55], s[34:35], v[48:49]
	v_fma_f64 v[100:101], v[54:55], s[20:21], v[100:101]
	v_add_f64 v[50:51], v[106:107], v[50:51]
	v_mul_f64 v[106:107], v[60:61], s[38:39]
	v_add_f64 v[26:27], v[140:141], v[26:27]
	v_add_f64 v[34:35], v[144:145], v[34:35]
	;; [unrolled: 1-line block ×3, first 2 shown]
	v_fma_f64 v[48:49], v[62:63], s[18:19], v[114:115]
	v_add_f64 v[28:29], v[100:101], v[28:29]
	v_fma_f64 v[108:109], v[64:65], s[40:41], -v[106:107]
	v_add_f64 v[42:43], v[48:49], v[42:43]
	v_fma_f64 v[48:49], v[62:63], s[28:29], v[102:103]
	v_add_f64 v[56:57], v[108:109], v[56:57]
	v_mul_f64 v[108:109], v[60:61], s[42:43]
	v_add_f64 v[44:45], v[48:49], v[44:45]
	v_fma_f64 v[48:49], v[62:63], s[40:41], v[104:105]
	v_fma_f64 v[110:111], v[64:65], s[20:21], -v[108:109]
	v_add_f64 v[46:47], v[48:49], v[46:47]
	v_add_f64 v[50:51], v[110:111], v[50:51]
	v_mul_f64 v[110:111], v[86:87], s[46:47]
	v_mul_f64 v[48:49], v[52:53], s[42:43]
	v_fma_f64 v[122:123], v[84:85], s[36:37], -v[110:111]
	v_add_f64 v[56:57], v[122:123], v[56:57]
	v_mul_f64 v[122:123], v[86:87], s[48:49]
	v_fma_f64 v[124:125], v[84:85], s[24:25], -v[122:123]
	v_add_f64 v[50:51], v[124:125], v[50:51]
	;; [unrolled: 3-line block ×8, first 2 shown]
	v_fma_f64 v[138:139], v[54:55], s[36:37], -v[58:59]
	v_fma_f64 v[58:59], v[54:55], s[36:37], v[58:59]
	v_fma_f64 v[54:55], v[62:63], s[20:21], -v[48:49]
	v_fma_f64 v[48:49], v[62:63], s[20:21], v[48:49]
	v_add_f64 v[22:23], v[138:139], v[22:23]
	v_add_f64 v[24:25], v[58:59], v[24:25]
	;; [unrolled: 1-line block ×4, first 2 shown]
	v_mul_f64 v[48:49], v[52:53], s[48:49]
	v_mul_f64 v[54:55], v[52:53], s[26:27]
	;; [unrolled: 1-line block ×4, first 2 shown]
	v_fma_f64 v[100:101], v[62:63], s[24:25], -v[48:49]
	v_fma_f64 v[48:49], v[62:63], s[24:25], v[48:49]
	v_fma_f64 v[102:103], v[62:63], s[34:35], -v[54:55]
	v_fma_f64 v[112:113], v[62:63], s[36:37], -v[52:53]
	v_fma_f64 v[52:53], v[62:63], s[36:37], v[52:53]
	v_fma_f64 v[54:55], v[62:63], s[34:35], v[54:55]
	v_fma_f64 v[104:105], v[62:63], s[12:13], -v[58:59]
	v_fma_f64 v[58:59], v[62:63], s[12:13], v[58:59]
	v_add_f64 v[22:23], v[100:101], v[22:23]
	v_add_f64 v[24:25], v[48:49], v[24:25]
	v_fma_f64 v[48:49], v[64:65], s[12:13], v[116:117]
	v_add_f64 v[26:27], v[102:103], v[26:27]
	v_add_f64 v[36:37], v[52:53], v[36:37]
	;; [unrolled: 1-line block ×3, first 2 shown]
	v_mul_f64 v[54:55], v[60:61], s[56:57]
	v_add_f64 v[32:33], v[58:59], v[32:33]
	v_mul_f64 v[58:59], v[60:61], s[48:49]
	v_add_f64 v[30:31], v[104:105], v[30:31]
	v_add_f64 v[42:43], v[48:49], v[42:43]
	v_fma_f64 v[48:49], v[64:65], s[40:41], v[106:107]
	v_add_f64 v[34:35], v[112:113], v[34:35]
	v_fma_f64 v[100:101], v[64:65], s[28:29], -v[54:55]
	v_fma_f64 v[54:55], v[64:65], s[28:29], v[54:55]
	v_fma_f64 v[102:103], v[64:65], s[24:25], -v[58:59]
	v_fma_f64 v[58:59], v[64:65], s[24:25], v[58:59]
	v_add_f64 v[44:45], v[48:49], v[44:45]
	v_fma_f64 v[48:49], v[64:65], s[20:21], v[108:109]
	v_add_f64 v[30:31], v[100:101], v[30:31]
	v_add_f64 v[32:33], v[54:55], v[32:33]
	v_mul_f64 v[54:55], v[86:87], s[26:27]
	v_add_f64 v[36:37], v[58:59], v[36:37]
	v_mul_f64 v[58:59], v[86:87], s[16:17]
	v_add_f64 v[34:35], v[102:103], v[34:35]
	v_add_f64 v[46:47], v[48:49], v[46:47]
	v_mul_f64 v[48:49], v[60:61], s[52:53]
	v_fma_f64 v[52:53], v[64:65], s[34:35], -v[48:49]
	v_fma_f64 v[48:49], v[64:65], s[34:35], v[48:49]
	v_add_f64 v[40:41], v[52:53], v[40:41]
	v_add_f64 v[38:39], v[48:49], v[38:39]
	v_mul_f64 v[48:49], v[60:61], s[6:7]
	v_mul_f64 v[52:53], v[60:61], s[30:31]
	v_fma_f64 v[60:61], v[64:65], s[18:19], -v[48:49]
	v_fma_f64 v[48:49], v[64:65], s[18:19], v[48:49]
	v_fma_f64 v[62:63], v[64:65], s[36:37], -v[52:53]
	v_fma_f64 v[52:53], v[64:65], s[36:37], v[52:53]
	;; [unrolled: 2-line block ×3, first 2 shown]
	v_add_f64 v[22:23], v[60:61], v[22:23]
	v_add_f64 v[24:25], v[48:49], v[24:25]
	v_fma_f64 v[48:49], v[84:85], s[20:21], v[118:119]
	v_add_f64 v[28:29], v[52:53], v[28:29]
	v_add_f64 v[26:27], v[62:63], v[26:27]
	;; [unrolled: 1-line block ×3, first 2 shown]
	v_fma_f64 v[54:55], v[80:81], s[20:21], v[124:125]
	v_add_f64 v[30:31], v[64:65], v[30:31]
	v_add_f64 v[42:43], v[48:49], v[42:43]
	v_fma_f64 v[48:49], v[84:85], s[36:37], v[110:111]
	v_add_f64 v[44:45], v[48:49], v[44:45]
	v_fma_f64 v[48:49], v[84:85], s[24:25], v[122:123]
	v_add_f64 v[44:45], v[54:55], v[44:45]
	v_add_f64 v[46:47], v[48:49], v[46:47]
	v_mul_f64 v[48:49], v[86:87], s[6:7]
	v_mul_f64 v[54:55], v[82:83], s[22:23]
	v_fma_f64 v[52:53], v[84:85], s[18:19], -v[48:49]
	v_fma_f64 v[48:49], v[84:85], s[18:19], v[48:49]
	v_add_f64 v[40:41], v[52:53], v[40:41]
	v_add_f64 v[38:39], v[48:49], v[38:39]
	v_mul_f64 v[48:49], v[86:87], s[38:39]
	v_mul_f64 v[52:53], v[86:87], s[54:55]
	v_fma_f64 v[86:87], v[84:85], s[28:29], -v[58:59]
	v_fma_f64 v[58:59], v[84:85], s[28:29], v[58:59]
	v_fma_f64 v[60:61], v[84:85], s[40:41], -v[48:49]
	v_fma_f64 v[48:49], v[84:85], s[40:41], v[48:49]
	;; [unrolled: 2-line block ×3, first 2 shown]
	v_add_f64 v[36:37], v[58:59], v[36:37]
	v_add_f64 v[34:35], v[86:87], v[34:35]
	;; [unrolled: 1-line block ×4, first 2 shown]
	v_mul_f64 v[48:49], v[82:83], s[30:31]
	v_add_f64 v[28:29], v[52:53], v[28:29]
	v_fma_f64 v[52:53], v[80:81], s[28:29], v[120:121]
	v_fma_f64 v[60:61], v[80:81], s[34:35], v[128:129]
	v_add_f64 v[26:27], v[62:63], v[26:27]
	v_fma_f64 v[62:63], v[80:81], s[24:25], -v[54:55]
	v_fma_f64 v[54:55], v[80:81], s[24:25], v[54:55]
	v_fma_f64 v[58:59], v[80:81], s[36:37], -v[48:49]
	v_fma_f64 v[48:49], v[80:81], s[36:37], v[48:49]
	v_add_f64 v[42:43], v[52:53], v[42:43]
	v_mul_f64 v[52:53], v[82:83], s[54:55]
	v_add_f64 v[46:47], v[60:61], v[46:47]
	v_mul_f64 v[60:61], v[82:83], s[38:39]
	v_add_f64 v[28:29], v[54:55], v[28:29]
	v_fma_f64 v[54:55], v[76:77], s[18:19], v[130:131]
	v_add_f64 v[40:41], v[58:59], v[40:41]
	v_mul_f64 v[58:59], v[82:83], s[50:51]
	v_add_f64 v[38:39], v[48:49], v[38:39]
	v_fma_f64 v[48:49], v[80:81], s[12:13], -v[52:53]
	v_fma_f64 v[52:53], v[80:81], s[12:13], v[52:53]
	v_fma_f64 v[64:65], v[80:81], s[40:41], -v[60:61]
	v_fma_f64 v[60:61], v[80:81], s[40:41], v[60:61]
	v_add_f64 v[44:45], v[54:55], v[44:45]
	v_mul_f64 v[54:55], v[78:79], s[38:39]
	v_fma_f64 v[82:83], v[80:81], s[18:19], -v[58:59]
	v_fma_f64 v[58:59], v[80:81], s[18:19], v[58:59]
	v_add_f64 v[22:23], v[48:49], v[22:23]
	v_add_f64 v[24:25], v[52:53], v[24:25]
	v_mul_f64 v[48:49], v[78:79], s[56:57]
	v_fma_f64 v[52:53], v[76:77], s[36:37], v[126:127]
	v_add_f64 v[32:33], v[60:61], v[32:33]
	v_fma_f64 v[60:61], v[76:77], s[12:13], v[132:133]
	v_mul_f64 v[80:81], v[74:75], s[48:49]
	v_add_f64 v[36:37], v[58:59], v[36:37]
	v_add_f64 v[30:31], v[64:65], v[30:31]
	;; [unrolled: 1-line block ×3, first 2 shown]
	v_fma_f64 v[58:59], v[76:77], s[28:29], -v[48:49]
	v_add_f64 v[42:43], v[52:53], v[42:43]
	v_fma_f64 v[48:49], v[76:77], s[28:29], v[48:49]
	v_mul_f64 v[52:53], v[78:79], s[26:27]
	v_add_f64 v[46:47], v[60:61], v[46:47]
	v_mul_f64 v[60:61], v[78:79], s[48:49]
	v_fma_f64 v[62:63], v[76:77], s[40:41], -v[54:55]
	v_fma_f64 v[54:55], v[76:77], s[40:41], v[54:55]
	v_add_f64 v[40:41], v[58:59], v[40:41]
	v_mul_f64 v[58:59], v[78:79], s[10:11]
	v_add_f64 v[38:39], v[48:49], v[38:39]
	v_fma_f64 v[48:49], v[76:77], s[34:35], -v[52:53]
	v_fma_f64 v[52:53], v[76:77], s[34:35], v[52:53]
	v_fma_f64 v[64:65], v[76:77], s[24:25], -v[60:61]
	v_fma_f64 v[60:61], v[76:77], s[24:25], v[60:61]
	v_add_f64 v[34:35], v[82:83], v[34:35]
	v_add_f64 v[28:29], v[54:55], v[28:29]
	v_fma_f64 v[78:79], v[76:77], s[20:21], -v[58:59]
	v_fma_f64 v[58:59], v[76:77], s[20:21], v[58:59]
	v_add_f64 v[22:23], v[48:49], v[22:23]
	v_fma_f64 v[48:49], v[72:73], s[34:35], v[134:135]
	v_add_f64 v[24:25], v[52:53], v[24:25]
	v_fma_f64 v[52:53], v[72:73], s[24:25], -v[80:81]
	v_add_f64 v[32:33], v[60:61], v[32:33]
	v_mul_f64 v[60:61], v[74:75], s[54:55]
	v_fma_f64 v[54:55], v[72:73], s[24:25], v[80:81]
	v_add_f64 v[36:37], v[58:59], v[36:37]
	v_mul_f64 v[58:59], v[74:75], s[50:51]
	v_add_f64 v[44:45], v[48:49], v[44:45]
	v_mul_f64 v[48:49], v[74:75], s[16:17]
	;; [unrolled: 2-line block ×3, first 2 shown]
	v_add_f64 v[30:31], v[64:65], v[30:31]
	v_add_f64 v[26:27], v[62:63], v[26:27]
	;; [unrolled: 1-line block ×3, first 2 shown]
	v_fma_f64 v[74:75], v[72:73], s[18:19], -v[58:59]
	v_fma_f64 v[78:79], v[72:73], s[12:13], -v[60:61]
	v_fma_f64 v[64:65], v[72:73], s[28:29], -v[48:49]
	v_fma_f64 v[60:61], v[72:73], s[12:13], v[60:61]
	v_fma_f64 v[76:77], v[72:73], s[20:21], -v[52:53]
	v_fma_f64 v[58:59], v[72:73], s[18:19], v[58:59]
	v_fma_f64 v[52:53], v[72:73], s[20:21], v[52:53]
	;; [unrolled: 1-line block ×4, first 2 shown]
	v_add_f64 v[38:39], v[54:55], v[38:39]
	v_fma_f64 v[54:55], v[72:73], s[40:41], v[98:99]
	v_add_f64 v[22:23], v[64:65], v[22:23]
	v_add_f64 v[26:27], v[74:75], v[26:27]
	;; [unrolled: 1-line block ×10, first 2 shown]
	ds_write2_b64 v170, v[56:57], v[50:51] offset0:2 offset1:3
	ds_write2_b64 v170, v[40:41], v[22:23] offset0:4 offset1:5
	;; [unrolled: 1-line block ×7, first 2 shown]
	ds_write_b64 v170, v[42:43] offset:128
	v_mul_lo_u16_sdwa v22, v164, s0 dst_sel:DWORD dst_unused:UNUSED_PAD src0_sel:BYTE_0 src1_sel:DWORD
	v_lshrrev_b16_e32 v100, 12, v22
	v_mul_lo_u16_e32 v22, 17, v100
	v_sub_u16_e32 v101, v164, v22
	v_mov_b32_e32 v22, 8
	v_lshlrev_b32_sdwa v86, v22, v101 dst_sel:DWORD dst_unused:UNUSED_PAD src0_sel:DWORD src1_sel:BYTE_0
	s_waitcnt lgkmcnt(0)
	; wave barrier
	s_waitcnt lgkmcnt(0)
	global_load_dwordx4 v[22:25], v86, s[8:9] offset:80
	global_load_dwordx4 v[26:29], v86, s[8:9] offset:96
	;; [unrolled: 1-line block ×8, first 2 shown]
	ds_read2_b64 v[30:33], v177 offset0:50 offset1:101
	global_load_dwordx4 v[62:65], v86, s[8:9] offset:208
	global_load_dwordx4 v[72:75], v86, s[8:9]
	global_load_dwordx4 v[80:83], v86, s[8:9] offset:240
	global_load_dwordx4 v[102:105], v86, s[8:9] offset:224
	;; [unrolled: 1-line block ×3, first 2 shown]
	ds_read2_b64 v[76:79], v177 offset0:152 offset1:203
	global_load_dwordx4 v[120:123], v86, s[8:9] offset:48
	global_load_dwordx4 v[124:127], v86, s[8:9] offset:64
	v_mul_u32_u24_e32 v100, 0x908, v100
	v_cmp_gt_u32_e64 s[0:1], 34, v164
	s_waitcnt vmcnt(14) lgkmcnt(1)
	v_mul_f64 v[34:35], v[30:31], v[24:25]
	v_mul_f64 v[24:25], v[16:17], v[24:25]
	s_waitcnt vmcnt(13)
	v_mul_f64 v[84:85], v[32:33], v[28:29]
	v_fma_f64 v[34:35], v[16:17], v[22:23], v[34:35]
	v_mul_f64 v[16:17], v[18:19], v[28:29]
	v_fma_f64 v[40:41], v[30:31], v[22:23], -v[24:25]
	v_fma_f64 v[30:31], v[18:19], v[26:27], v[84:85]
	s_waitcnt vmcnt(12) lgkmcnt(0)
	v_mul_f64 v[22:23], v[76:77], v[38:39]
	v_mul_f64 v[24:25], v[12:13], v[38:39]
	s_waitcnt vmcnt(11)
	v_mul_f64 v[28:29], v[14:15], v[44:45]
	s_waitcnt vmcnt(10)
	v_mul_f64 v[38:39], v[8:9], v[48:49]
	v_fma_f64 v[32:33], v[32:33], v[26:27], -v[16:17]
	global_load_dwordx4 v[16:19], v86, s[8:9] offset:16
	v_mul_f64 v[26:27], v[78:79], v[44:45]
	v_fma_f64 v[22:23], v[12:13], v[36:37], v[22:23]
	v_fma_f64 v[24:25], v[76:77], v[36:37], -v[24:25]
	v_fma_f64 v[28:29], v[78:79], v[42:43], -v[28:29]
	v_fma_f64 v[26:27], v[14:15], v[42:43], v[26:27]
	ds_read2_b64 v[12:15], v179 offset0:126 offset1:177
	s_waitcnt lgkmcnt(0)
	v_mul_f64 v[36:37], v[12:13], v[48:49]
	v_fma_f64 v[38:39], v[12:13], v[46:47], -v[38:39]
	s_waitcnt vmcnt(10)
	v_mul_f64 v[12:13], v[10:11], v[52:53]
	v_fma_f64 v[36:37], v[8:9], v[46:47], v[36:37]
	v_mul_f64 v[8:9], v[14:15], v[52:53]
	v_fma_f64 v[44:45], v[14:15], v[50:51], -v[12:13]
	s_waitcnt vmcnt(9)
	v_mul_f64 v[14:15], v[4:5], v[56:57]
	v_fma_f64 v[42:43], v[10:11], v[50:51], v[8:9]
	ds_read2_b64 v[8:11], v180 offset0:100 offset1:151
	s_waitcnt lgkmcnt(0)
	v_mul_f64 v[12:13], v[8:9], v[56:57]
	s_waitcnt vmcnt(8)
	v_mul_f64 v[50:51], v[10:11], v[60:61]
	v_fma_f64 v[48:49], v[8:9], v[54:55], -v[14:15]
	s_waitcnt vmcnt(7)
	v_mul_f64 v[8:9], v[0:1], v[64:65]
	v_fma_f64 v[46:47], v[4:5], v[54:55], v[12:13]
	ds_read2_b64 v[12:15], v180 offset0:202 offset1:253
	v_fma_f64 v[50:51], v[6:7], v[58:59], v[50:51]
	v_mul_f64 v[4:5], v[6:7], v[60:61]
	s_waitcnt lgkmcnt(0)
	v_mul_f64 v[6:7], v[12:13], v[64:65]
	v_fma_f64 v[60:61], v[12:13], v[62:63], -v[8:9]
	s_waitcnt vmcnt(4)
	v_mul_f64 v[8:9], v[2:3], v[104:105]
	v_fma_f64 v[52:53], v[10:11], v[58:59], -v[4:5]
	ds_read_b64 v[4:5], v172
	ds_read_b64 v[10:11], v178 offset:6528
	v_fma_f64 v[78:79], v[0:1], v[62:63], v[6:7]
	v_mul_f64 v[0:1], v[90:91], v[74:75]
	v_mul_f64 v[6:7], v[92:93], v[82:83]
	v_fma_f64 v[62:63], v[14:15], v[102:103], -v[8:9]
	ds_read_b64 v[8:9], v173
	s_waitcnt lgkmcnt(2)
	v_mul_f64 v[12:13], v[4:5], v[74:75]
	v_fma_f64 v[86:87], v[4:5], v[72:73], -v[0:1]
	s_waitcnt lgkmcnt(1)
	v_mul_f64 v[0:1], v[10:11], v[82:83]
	v_fma_f64 v[58:59], v[10:11], v[80:81], -v[6:7]
	v_mul_f64 v[6:7], v[14:15], v[104:105]
	v_fma_f64 v[90:91], v[90:91], v[72:73], v[12:13]
	v_add_f64 v[14:15], v[32:33], -v[38:39]
	v_fma_f64 v[92:93], v[92:93], v[80:81], v[0:1]
	v_add_f64 v[112:113], v[86:87], -v[58:59]
	s_waitcnt vmcnt(0)
	v_mul_f64 v[4:5], v[88:89], v[18:19]
	s_waitcnt lgkmcnt(0)
	v_mul_f64 v[0:1], v[8:9], v[18:19]
	v_fma_f64 v[84:85], v[2:3], v[102:103], v[6:7]
	v_mul_f64 v[2:3], v[94:95], v[118:119]
	v_mul_f64 v[128:129], v[14:15], s[50:51]
	;; [unrolled: 1-line block ×3, first 2 shown]
	v_add_f64 v[108:109], v[90:91], v[92:93]
	v_mul_f64 v[110:111], v[112:113], s[26:27]
	v_fma_f64 v[80:81], v[8:9], v[16:17], -v[4:5]
	ds_read_b64 v[4:5], v174
	ds_read_b64 v[6:7], v175
	v_fma_f64 v[88:89], v[88:89], v[16:17], v[0:1]
	ds_read_b64 v[8:9], v171
	v_mul_f64 v[182:183], v[112:113], s[22:23]
	s_waitcnt lgkmcnt(2)
	v_mul_f64 v[0:1], v[4:5], v[118:119]
	v_fma_f64 v[82:83], v[4:5], v[116:117], -v[2:3]
	s_waitcnt lgkmcnt(1)
	v_mul_f64 v[2:3], v[6:7], v[122:123]
	v_add_f64 v[114:115], v[80:81], -v[62:63]
	v_mul_f64 v[4:5], v[96:97], v[122:123]
	v_fma_f64 v[10:11], v[108:109], s[34:35], v[110:111]
	v_add_f64 v[102:103], v[88:89], v[84:85]
	v_mul_f64 v[184:185], v[112:113], s[6:7]
	v_fma_f64 v[94:95], v[94:95], v[116:117], v[0:1]
	v_add_f64 v[118:119], v[82:83], -v[60:61]
	v_fma_f64 v[74:75], v[96:97], v[120:121], v[2:3]
	v_mul_f64 v[104:105], v[114:115], s[22:23]
	v_fma_f64 v[76:77], v[6:7], v[120:121], -v[4:5]
	s_waitcnt lgkmcnt(0)
	v_mul_f64 v[0:1], v[8:9], v[126:127]
	v_mul_f64 v[2:3], v[66:67], v[126:127]
	v_add_f64 v[4:5], v[20:21], v[10:11]
	v_add_f64 v[72:73], v[94:95], v[78:79]
	v_mul_f64 v[98:99], v[118:119], s[6:7]
	v_add_f64 v[54:55], v[74:75], v[50:51]
	v_fma_f64 v[6:7], v[102:103], s[24:25], v[104:105]
	v_add_f64 v[116:117], v[76:77], -v[52:53]
	v_fma_f64 v[64:65], v[66:67], v[124:125], v[0:1]
	v_fma_f64 v[66:67], v[8:9], v[124:125], -v[2:3]
	v_add_f64 v[96:97], v[40:41], -v[44:45]
	v_add_f64 v[10:11], v[34:35], v[42:43]
	v_fma_f64 v[2:3], v[72:73], s[18:19], v[98:99]
	v_mul_f64 v[8:9], v[14:15], s[30:31]
	v_add_f64 v[0:1], v[6:7], v[4:5]
	v_mul_f64 v[56:57], v[116:117], s[4:5]
	v_add_f64 v[16:17], v[64:65], v[46:47]
	v_add_f64 v[106:107], v[66:67], -v[48:49]
	v_mul_f64 v[12:13], v[96:97], s[16:17]
	v_add_f64 v[6:7], v[30:31], v[36:37]
	v_add_f64 v[4:5], v[24:25], -v[28:29]
	v_mul_f64 v[154:155], v[114:115], s[4:5]
	v_add_f64 v[0:1], v[2:3], v[0:1]
	v_fma_f64 v[2:3], v[54:55], s[12:13], v[56:57]
	v_mul_f64 v[158:159], v[114:115], s[16:17]
	v_mul_f64 v[18:19], v[106:107], s[10:11]
	;; [unrolled: 1-line block ×7, first 2 shown]
	v_add_f64 v[0:1], v[2:3], v[0:1]
	v_fma_f64 v[124:125], v[102:103], s[28:29], v[158:159]
	v_fma_f64 v[2:3], v[16:17], s[20:21], v[18:19]
	v_mul_f64 v[138:139], v[106:107], s[48:49]
	v_mul_f64 v[132:133], v[96:97], s[42:43]
	v_mul_f64 v[134:135], v[96:97], s[26:27]
	v_mul_f64 v[186:187], v[112:113], s[4:5]
	v_mul_f64 v[188:189], v[114:115], s[38:39]
	v_mul_f64 v[190:191], v[112:113], s[10:11]
	v_mul_f64 v[192:193], v[114:115], s[46:47]
	v_add_f64 v[0:1], v[2:3], v[0:1]
	v_fma_f64 v[2:3], v[10:11], s[28:29], v[12:13]
	v_mul_f64 v[194:195], v[118:119], s[42:43]
	v_mul_f64 v[196:197], v[118:119], s[48:49]
	;; [unrolled: 1-line block ×3, first 2 shown]
	v_fma_f64 v[144:145], v[102:103], s[40:41], v[188:189]
	v_mul_f64 v[200:201], v[116:117], s[6:7]
	v_fma_f64 v[148:149], v[102:103], s[36:37], v[192:193]
	v_mul_f64 v[202:203], v[106:107], s[6:7]
	v_add_f64 v[0:1], v[2:3], v[0:1]
	v_fma_f64 v[2:3], v[6:7], s[36:37], v[8:9]
	v_mul_f64 v[204:205], v[106:107], s[38:39]
	v_mul_f64 v[206:207], v[96:97], s[30:31]
	;; [unrolled: 1-line block ×7, first 2 shown]
	v_add_f64 v[120:121], v[2:3], v[0:1]
	v_add_f64 v[0:1], v[22:23], v[26:27]
	v_mul_f64 v[2:3], v[4:5], s[38:39]
	v_mul_f64 v[114:115], v[114:115], s[52:53]
	v_fma_f64 v[110:111], v[108:109], s[34:35], -v[110:111]
	v_fma_f64 v[188:189], v[102:103], s[40:41], -v[188:189]
	v_fma_f64 v[216:217], v[102:103], s[20:21], v[214:215]
	v_fma_f64 v[222:223], v[102:103], s[18:19], v[220:221]
	v_fma_f64 v[192:193], v[102:103], s[36:37], -v[192:193]
	v_fma_f64 v[104:105], v[102:103], s[24:25], -v[104:105]
	v_fma_f64 v[122:123], v[0:1], s[40:41], v[2:3]
	v_fma_f64 v[248:249], v[102:103], s[34:35], v[114:115]
	v_fma_f64 v[114:115], v[102:103], s[34:35], -v[114:115]
	v_add_f64 v[110:111], v[20:21], v[110:111]
	v_fma_f64 v[98:99], v[72:73], s[18:19], -v[98:99]
	v_fma_f64 v[56:57], v[54:55], s[12:13], -v[56:57]
	;; [unrolled: 1-line block ×4, first 2 shown]
	v_add_f64 v[120:121], v[122:123], v[120:121]
	v_mov_b32_e32 v122, 3
	v_lshlrev_b32_sdwa v101, v122, v101 dst_sel:DWORD dst_unused:UNUSED_PAD src0_sel:DWORD src1_sel:BYTE_0
	v_add3_u32 v181, 0, v100, v101
	v_add_f64 v[100:101], v[20:21], v[90:91]
	v_add_f64 v[104:105], v[104:105], v[110:111]
	v_fma_f64 v[8:9], v[6:7], s[36:37], -v[8:9]
	v_add_f64 v[100:101], v[100:101], v[88:89]
	v_add_f64 v[98:99], v[98:99], v[104:105]
	v_add_f64 v[100:101], v[100:101], v[94:95]
	v_add_f64 v[56:57], v[56:57], v[98:99]
	v_add_f64 v[100:101], v[100:101], v[74:75]
	v_add_f64 v[18:19], v[18:19], v[56:57]
	v_add_f64 v[100:101], v[100:101], v[64:65]
	v_add_f64 v[12:13], v[12:13], v[18:19]
	v_add_f64 v[100:101], v[100:101], v[34:35]
	v_add_f64 v[8:9], v[8:9], v[12:13]
	v_add_f64 v[100:101], v[100:101], v[30:31]
	v_add_f64 v[100:101], v[100:101], v[22:23]
	v_add_f64 v[100:101], v[100:101], v[26:27]
	v_add_f64 v[100:101], v[100:101], v[36:37]
	v_add_f64 v[100:101], v[100:101], v[42:43]
	v_add_f64 v[100:101], v[100:101], v[46:47]
	v_add_f64 v[100:101], v[100:101], v[50:51]
	v_add_f64 v[100:101], v[100:101], v[78:79]
	v_add_f64 v[100:101], v[100:101], v[84:85]
	v_add_f64 v[122:123], v[100:101], v[92:93]
	ds_read_b64 v[100:101], v178
	s_waitcnt lgkmcnt(0)
	; wave barrier
	s_waitcnt lgkmcnt(0)
	ds_write2_b64 v181, v[122:123], v[120:121] offset1:17
	v_fma_f64 v[120:121], v[108:109], s[24:25], v[182:183]
	v_fma_f64 v[122:123], v[102:103], s[12:13], v[154:155]
	v_fma_f64 v[182:183], v[108:109], s[24:25], -v[182:183]
	v_fma_f64 v[154:155], v[102:103], s[12:13], -v[154:155]
	v_add_f64 v[120:121], v[20:21], v[120:121]
	v_add_f64 v[182:183], v[20:21], v[182:183]
	;; [unrolled: 1-line block ×3, first 2 shown]
	v_fma_f64 v[122:123], v[108:109], s[18:19], v[184:185]
	v_add_f64 v[110:111], v[154:155], v[182:183]
	v_fma_f64 v[182:183], v[72:73], s[24:25], -v[196:197]
	v_add_f64 v[122:123], v[20:21], v[122:123]
	v_add_f64 v[122:123], v[124:125], v[122:123]
	v_fma_f64 v[124:125], v[72:73], s[28:29], v[152:153]
	v_fma_f64 v[152:153], v[72:73], s[28:29], -v[152:153]
	v_add_f64 v[120:121], v[124:125], v[120:121]
	v_fma_f64 v[124:125], v[72:73], s[40:41], v[156:157]
	v_add_f64 v[104:105], v[152:153], v[110:111]
	v_fma_f64 v[152:153], v[54:55], s[18:19], -v[200:201]
	v_add_f64 v[122:123], v[124:125], v[122:123]
	v_fma_f64 v[124:125], v[54:55], s[40:41], v[140:141]
	v_fma_f64 v[140:141], v[54:55], s[40:41], -v[140:141]
	v_add_f64 v[120:121], v[124:125], v[120:121]
	v_fma_f64 v[124:125], v[54:55], s[20:21], v[146:147]
	v_add_f64 v[98:99], v[140:141], v[104:105]
	v_add_f64 v[122:123], v[124:125], v[122:123]
	v_fma_f64 v[124:125], v[16:17], s[36:37], v[136:137]
	v_add_f64 v[120:121], v[124:125], v[120:121]
	v_fma_f64 v[124:125], v[16:17], s[24:25], v[138:139]
	;; [unrolled: 2-line block ×6, first 2 shown]
	v_add_f64 v[122:123], v[124:125], v[122:123]
	v_mul_f64 v[124:125], v[4:5], s[52:53]
	v_fma_f64 v[126:127], v[0:1], s[34:35], v[124:125]
	v_add_f64 v[120:121], v[126:127], v[120:121]
	v_mul_f64 v[126:127], v[4:5], s[30:31]
	v_fma_f64 v[142:143], v[0:1], s[36:37], v[126:127]
	v_add_f64 v[122:123], v[142:143], v[122:123]
	v_fma_f64 v[142:143], v[108:109], s[12:13], v[186:187]
	v_fma_f64 v[186:187], v[108:109], s[12:13], -v[186:187]
	v_add_f64 v[142:143], v[20:21], v[142:143]
	v_add_f64 v[142:143], v[144:145], v[142:143]
	v_fma_f64 v[144:145], v[108:109], s[20:21], v[190:191]
	v_fma_f64 v[190:191], v[108:109], s[20:21], -v[190:191]
	v_add_f64 v[144:145], v[20:21], v[144:145]
	v_add_f64 v[144:145], v[148:149], v[144:145]
	v_fma_f64 v[148:149], v[72:73], s[20:21], v[194:195]
	v_add_f64 v[142:143], v[148:149], v[142:143]
	v_fma_f64 v[148:149], v[72:73], s[24:25], v[196:197]
	;; [unrolled: 2-line block ×10, first 2 shown]
	v_add_f64 v[144:145], v[148:149], v[144:145]
	v_mul_f64 v[148:149], v[4:5], s[48:49]
	v_fma_f64 v[150:151], v[0:1], s[24:25], v[148:149]
	v_add_f64 v[142:143], v[150:151], v[142:143]
	v_mul_f64 v[150:151], v[4:5], s[16:17]
	v_fma_f64 v[210:211], v[0:1], s[28:29], v[150:151]
	;; [unrolled: 3-line block ×3, first 2 shown]
	v_add_f64 v[212:213], v[20:21], v[212:213]
	v_add_f64 v[212:213], v[216:217], v[212:213]
	v_mul_f64 v[216:217], v[112:113], s[30:31]
	v_mul_f64 v[112:113], v[112:113], s[38:39]
	v_fma_f64 v[218:219], v[108:109], s[36:37], v[216:217]
	v_add_f64 v[218:219], v[20:21], v[218:219]
	v_add_f64 v[218:219], v[222:223], v[218:219]
	v_mul_f64 v[222:223], v[118:119], s[26:27]
	v_fma_f64 v[224:225], v[72:73], s[34:35], v[222:223]
	v_add_f64 v[212:213], v[224:225], v[212:213]
	v_mul_f64 v[224:225], v[118:119], s[4:5]
	v_fma_f64 v[226:227], v[72:73], s[12:13], v[224:225]
	v_fma_f64 v[154:155], v[72:73], s[12:13], -v[224:225]
	v_add_f64 v[218:219], v[226:227], v[218:219]
	v_mul_f64 v[226:227], v[116:117], s[30:31]
	v_fma_f64 v[228:229], v[54:55], s[36:37], v[226:227]
	v_add_f64 v[212:213], v[228:229], v[212:213]
	v_mul_f64 v[228:229], v[116:117], s[56:57]
	v_fma_f64 v[230:231], v[54:55], s[28:29], v[228:229]
	v_fma_f64 v[110:111], v[54:55], s[28:29], -v[228:229]
	v_add_f64 v[218:219], v[230:231], v[218:219]
	v_mul_f64 v[230:231], v[106:107], s[54:55]
	v_fma_f64 v[232:233], v[16:17], s[12:13], v[230:231]
	v_add_f64 v[212:213], v[232:233], v[212:213]
	v_mul_f64 v[232:233], v[106:107], s[26:27]
	v_mul_f64 v[106:107], v[106:107], s[16:17]
	v_fma_f64 v[234:235], v[16:17], s[34:35], v[232:233]
	v_fma_f64 v[104:105], v[16:17], s[34:35], -v[232:233]
	v_add_f64 v[218:219], v[234:235], v[218:219]
	v_mul_f64 v[234:235], v[96:97], s[22:23]
	v_fma_f64 v[236:237], v[10:11], s[24:25], v[234:235]
	v_add_f64 v[212:213], v[236:237], v[212:213]
	v_mul_f64 v[236:237], v[96:97], s[38:39]
	v_mul_f64 v[96:97], v[96:97], s[50:51]
	v_fma_f64 v[238:239], v[10:11], s[40:41], v[236:237]
	v_add_f64 v[218:219], v[238:239], v[218:219]
	v_mul_f64 v[238:239], v[14:15], s[38:39]
	v_fma_f64 v[240:241], v[6:7], s[40:41], v[238:239]
	v_add_f64 v[212:213], v[240:241], v[212:213]
	v_mul_f64 v[240:241], v[14:15], s[48:49]
	v_mul_f64 v[14:15], v[14:15], s[10:11]
	v_fma_f64 v[242:243], v[6:7], s[24:25], v[240:241]
	;; [unrolled: 7-line block ×3, first 2 shown]
	v_add_f64 v[218:219], v[246:247], v[218:219]
	v_fma_f64 v[246:247], v[108:109], s[40:41], v[112:113]
	v_fma_f64 v[112:113], v[108:109], s[40:41], -v[112:113]
	v_add_f64 v[246:247], v[20:21], v[246:247]
	v_add_f64 v[112:113], v[20:21], v[112:113]
	;; [unrolled: 1-line block ×4, first 2 shown]
	v_mul_f64 v[114:115], v[118:119], s[30:31]
	v_fma_f64 v[118:119], v[72:73], s[36:37], v[114:115]
	v_fma_f64 v[114:115], v[72:73], s[36:37], -v[114:115]
	v_add_f64 v[118:119], v[118:119], v[246:247]
	v_add_f64 v[112:113], v[114:115], v[112:113]
	v_mul_f64 v[114:115], v[116:117], s[48:49]
	v_fma_f64 v[116:117], v[54:55], s[24:25], v[114:115]
	v_fma_f64 v[114:115], v[54:55], s[24:25], -v[114:115]
	v_add_f64 v[116:117], v[116:117], v[118:119]
	v_add_f64 v[112:113], v[114:115], v[112:113]
	v_fma_f64 v[114:115], v[108:109], s[28:29], -v[210:211]
	v_fma_f64 v[118:119], v[108:109], s[36:37], -v[216:217]
	;; [unrolled: 1-line block ×3, first 2 shown]
	v_fma_f64 v[184:185], v[16:17], s[28:29], v[106:107]
	v_fma_f64 v[106:107], v[16:17], s[28:29], -v[106:107]
	v_add_f64 v[114:115], v[20:21], v[114:115]
	v_add_f64 v[118:119], v[20:21], v[118:119]
	;; [unrolled: 1-line block ×6, first 2 shown]
	v_fma_f64 v[108:109], v[102:103], s[20:21], -v[214:215]
	v_fma_f64 v[190:191], v[102:103], s[18:19], -v[220:221]
	v_fma_f64 v[102:103], v[102:103], s[28:29], -v[158:159]
	v_add_f64 v[106:107], v[106:107], v[112:113]
	v_fma_f64 v[158:159], v[72:73], s[20:21], -v[194:195]
	v_add_f64 v[108:109], v[108:109], v[114:115]
	v_add_f64 v[112:113], v[190:191], v[118:119]
	;; [unrolled: 1-line block ×5, first 2 shown]
	v_fma_f64 v[102:103], v[72:73], s[34:35], -v[222:223]
	v_fma_f64 v[72:73], v[72:73], s[40:41], -v[156:157]
	v_fma_f64 v[156:157], v[10:11], s[18:19], v[96:97]
	v_fma_f64 v[96:97], v[10:11], s[18:19], -v[96:97]
	v_add_f64 v[102:103], v[102:103], v[108:109]
	v_add_f64 v[108:109], v[154:155], v[112:113]
	v_add_f64 v[112:113], v[158:159], v[114:115]
	v_add_f64 v[114:115], v[182:183], v[118:119]
	v_add_f64 v[20:21], v[72:73], v[20:21]
	v_fma_f64 v[72:73], v[54:55], s[36:37], -v[226:227]
	v_fma_f64 v[118:119], v[54:55], s[34:35], -v[198:199]
	;; [unrolled: 1-line block ×3, first 2 shown]
	v_add_f64 v[96:97], v[96:97], v[106:107]
	v_add_f64 v[116:117], v[156:157], v[116:117]
	;; [unrolled: 1-line block ×7, first 2 shown]
	v_fma_f64 v[54:55], v[16:17], s[12:13], -v[230:231]
	v_fma_f64 v[110:111], v[16:17], s[18:19], -v[202:203]
	;; [unrolled: 1-line block ×5, first 2 shown]
	v_fma_f64 v[118:119], v[6:7], s[20:21], v[14:15]
	v_fma_f64 v[14:15], v[6:7], s[20:21], -v[14:15]
	v_add_f64 v[54:55], v[54:55], v[72:73]
	v_add_f64 v[72:73], v[104:105], v[102:103]
	;; [unrolled: 1-line block ×6, first 2 shown]
	v_fma_f64 v[20:21], v[10:11], s[24:25], -v[234:235]
	v_fma_f64 v[98:99], v[10:11], s[40:41], -v[236:237]
	v_fma_f64 v[106:107], v[10:11], s[36:37], -v[206:207]
	v_fma_f64 v[108:109], v[10:11], s[12:13], -v[208:209]
	v_fma_f64 v[110:111], v[10:11], s[20:21], -v[132:133]
	v_fma_f64 v[10:11], v[10:11], s[34:35], -v[134:135]
	v_add_f64 v[14:15], v[14:15], v[96:97]
	v_add_f64 v[116:117], v[118:119], v[116:117]
	;; [unrolled: 1-line block ×8, first 2 shown]
	v_fma_f64 v[16:17], v[6:7], s[40:41], -v[238:239]
	v_fma_f64 v[56:57], v[6:7], s[24:25], -v[240:241]
	;; [unrolled: 1-line block ×6, first 2 shown]
	v_fma_f64 v[106:107], v[0:1], s[12:13], v[4:5]
	v_fma_f64 v[4:5], v[0:1], s[12:13], -v[4:5]
	v_add_f64 v[16:17], v[16:17], v[20:21]
	v_add_f64 v[20:21], v[56:57], v[54:55]
	;; [unrolled: 1-line block ×6, first 2 shown]
	v_fma_f64 v[10:11], v[0:1], s[18:19], -v[242:243]
	v_fma_f64 v[18:19], v[0:1], s[20:21], -v[244:245]
	;; [unrolled: 1-line block ×7, first 2 shown]
	v_add_f64 v[106:107], v[106:107], v[116:117]
	v_add_f64 v[2:3], v[4:5], v[14:15]
	;; [unrolled: 1-line block ×9, first 2 shown]
	ds_write2_b64 v181, v[120:121], v[122:123] offset0:34 offset1:51
	ds_write2_b64 v181, v[142:143], v[144:145] offset0:68 offset1:85
	;; [unrolled: 1-line block ×7, first 2 shown]
	ds_write_b64 v181, v[56:57] offset:2176
	v_add_u32_e32 v16, 0x1400, v178
	s_waitcnt lgkmcnt(0)
	; wave barrier
	s_waitcnt lgkmcnt(0)
	ds_read_b64 v[96:97], v178
	ds_read_b64 v[98:99], v172
	;; [unrolled: 1-line block ×5, first 2 shown]
	ds_read2_b64 v[0:3], v179 offset0:109 offset1:194
	ds_read2_b64 v[8:11], v180 offset0:117 offset1:168
	;; [unrolled: 1-line block ×5, first 2 shown]
	v_sub_u32_e32 v20, 0, v176
	v_add_u32_e32 v108, v170, v20
                                        ; implicit-def: $vgpr72_vgpr73
	s_and_saveexec_b64 s[60:61], s[0:1]
	s_cbranch_execz .LBB0_15
; %bb.14:
	ds_read_b64 v[54:55], v171
	ds_read_b64 v[56:57], v108 offset:4352
	ds_read_b64 v[72:73], v108 offset:6664
.LBB0_15:
	s_or_b64 exec, exec, s[60:61]
	v_add_f64 v[20:21], v[100:101], v[86:87]
	v_add_f64 v[86:87], v[86:87], v[58:59]
	v_add_f64 v[90:91], v[90:91], -v[92:93]
	v_add_f64 v[92:93], v[80:81], v[62:63]
	v_add_f64 v[78:79], v[94:95], -v[78:79]
	v_add_f64 v[84:85], v[88:89], -v[84:85]
	v_add_f64 v[88:89], v[82:83], v[60:61]
	v_add_f64 v[50:51], v[74:75], -v[50:51]
	v_add_f64 v[20:21], v[20:21], v[80:81]
	v_mul_f64 v[80:81], v[86:87], s[34:35]
	v_mul_f64 v[94:95], v[86:87], s[24:25]
	;; [unrolled: 1-line block ×7, first 2 shown]
	v_add_f64 v[20:21], v[20:21], v[82:83]
	v_mul_f64 v[86:87], v[86:87], s[40:41]
	v_mul_f64 v[82:83], v[92:93], s[24:25]
	v_mul_f64 v[119:120], v[92:93], s[12:13]
	v_mul_f64 v[121:122], v[92:93], s[28:29]
	v_mul_f64 v[123:124], v[92:93], s[40:41]
	v_fma_f64 v[141:142], v[90:91], s[52:53], v[80:81]
	v_fma_f64 v[143:144], v[90:91], s[48:49], v[94:95]
	v_add_f64 v[20:21], v[20:21], v[76:77]
	v_fma_f64 v[94:95], v[90:91], s[22:23], v[94:95]
	v_fma_f64 v[145:146], v[90:91], s[50:51], v[109:110]
	v_fma_f64 v[109:110], v[90:91], s[6:7], v[109:110]
	v_fma_f64 v[147:148], v[90:91], s[54:55], v[111:112]
	v_mul_f64 v[125:126], v[92:93], s[36:37]
	v_mul_f64 v[127:128], v[92:93], s[20:21]
	;; [unrolled: 1-line block ×3, first 2 shown]
	v_add_f64 v[20:21], v[20:21], v[66:67]
	v_mul_f64 v[92:93], v[92:93], s[34:35]
	v_mul_f64 v[131:132], v[88:89], s[18:19]
	;; [unrolled: 1-line block ×5, first 2 shown]
	v_fma_f64 v[80:81], v[90:91], s[26:27], v[80:81]
	v_fma_f64 v[111:112], v[90:91], s[4:5], v[111:112]
	v_add_f64 v[20:21], v[20:21], v[40:41]
	v_fma_f64 v[149:150], v[90:91], s[42:43], v[113:114]
	v_fma_f64 v[113:114], v[90:91], s[10:11], v[113:114]
	;; [unrolled: 1-line block ×7, first 2 shown]
	v_add_f64 v[20:21], v[20:21], v[32:33]
	v_fma_f64 v[86:87], v[90:91], s[38:39], v[86:87]
	v_fma_f64 v[90:91], v[84:85], s[48:49], v[82:83]
	;; [unrolled: 1-line block ×7, first 2 shown]
	v_add_f64 v[20:21], v[20:21], v[24:25]
	v_add_f64 v[141:142], v[100:101], v[141:142]
	;; [unrolled: 1-line block ×6, first 2 shown]
	v_mul_f64 v[139:140], v[88:89], s[24:25]
	v_fma_f64 v[82:83], v[84:85], s[22:23], v[82:83]
	v_add_f64 v[20:21], v[20:21], v[28:29]
	v_fma_f64 v[123:124], v[84:85], s[38:39], v[123:124]
	v_fma_f64 v[176:177], v[84:85], s[30:31], v[125:126]
	;; [unrolled: 1-line block ×7, first 2 shown]
	v_add_f64 v[20:21], v[20:21], v[38:39]
	v_fma_f64 v[184:185], v[84:85], s[26:27], v[92:93]
	v_fma_f64 v[84:85], v[84:85], s[52:53], v[92:93]
	;; [unrolled: 1-line block ×7, first 2 shown]
	v_add_f64 v[20:21], v[20:21], v[44:45]
	v_fma_f64 v[190:191], v[78:79], s[10:11], v[137:138]
	v_add_f64 v[80:81], v[100:101], v[80:81]
	v_add_f64 v[143:144], v[100:101], v[143:144]
	v_add_f64 v[111:112], v[100:101], v[111:112]
	v_add_f64 v[149:150], v[100:101], v[149:150]
	v_add_f64 v[113:114], v[100:101], v[113:114]
	v_add_f64 v[151:152], v[100:101], v[151:152]
	v_add_f64 v[20:21], v[20:21], v[48:49]
	v_add_f64 v[115:116], v[100:101], v[115:116]
	v_add_f64 v[153:154], v[100:101], v[153:154]
	v_add_f64 v[117:118], v[100:101], v[117:118]
	v_add_f64 v[155:156], v[100:101], v[155:156]
	v_add_f64 v[86:87], v[100:101], v[86:87]
	v_add_f64 v[90:91], v[90:91], v[141:142]
	v_add_f64 v[94:95], v[119:120], v[94:95]
	v_add_f64 v[20:21], v[20:21], v[52:53]
	v_add_f64 v[100:101], v[159:160], v[145:146]
	v_add_f64 v[109:110], v[121:122], v[109:110]
	v_add_f64 v[119:120], v[161:162], v[147:148]
	v_add_f64 v[113:114], v[125:126], v[113:114]
	v_add_f64 v[84:85], v[84:85], v[86:87]
	v_add_f64 v[86:87], v[92:93], v[90:91]
	v_add_f64 v[90:91], v[133:134], v[94:95]
	v_add_f64 v[20:21], v[20:21], v[60:61]
	v_add_f64 v[92:93], v[188:189], v[100:101]
	v_mul_f64 v[94:95], v[88:89], s[34:35]
	v_fma_f64 v[100:101], v[78:79], s[48:49], v[139:140]
	v_add_f64 v[52:53], v[76:77], v[52:53]
	v_add_f64 v[115:116], v[127:128], v[115:116]
	;; [unrolled: 1-line block ×3, first 2 shown]
	v_mul_f64 v[76:77], v[88:89], s[36:37]
	v_add_f64 v[20:21], v[20:21], v[62:63]
	v_fma_f64 v[131:132], v[78:79], s[6:7], v[131:132]
	v_fma_f64 v[137:138], v[78:79], s[42:43], v[137:138]
	v_add_f64 v[100:101], v[100:101], v[113:114]
	v_mul_f64 v[74:75], v[52:53], s[12:13]
	v_fma_f64 v[192:193], v[78:79], s[22:23], v[139:140]
	v_add_f64 v[80:81], v[82:83], v[80:81]
	v_add_f64 v[82:83], v[157:158], v[143:144]
	;; [unrolled: 1-line block ×5, first 2 shown]
	v_mul_f64 v[119:120], v[88:89], s[12:13]
	v_fma_f64 v[88:89], v[78:79], s[52:53], v[94:95]
	v_fma_f64 v[94:95], v[78:79], s[26:27], v[94:95]
	v_add_f64 v[60:61], v[123:124], v[111:112]
	v_add_f64 v[121:122], v[178:179], v[151:152]
	;; [unrolled: 1-line block ×3, first 2 shown]
	v_fma_f64 v[125:126], v[78:79], s[46:47], v[76:77]
	v_fma_f64 v[76:77], v[78:79], s[30:31], v[76:77]
	v_fma_f64 v[113:114], v[78:79], s[54:55], v[119:120]
	v_fma_f64 v[119:120], v[78:79], s[4:5], v[119:120]
	v_add_f64 v[78:79], v[94:95], v[115:116]
	v_mul_f64 v[94:95], v[52:53], s[40:41]
	v_add_f64 v[111:112], v[176:177], v[149:150]
	v_add_f64 v[80:81], v[131:132], v[80:81]
	;; [unrolled: 1-line block ×6, first 2 shown]
	v_fma_f64 v[117:118], v[50:51], s[54:55], v[74:75]
	v_mul_f64 v[119:120], v[52:53], s[20:21]
	v_add_f64 v[76:77], v[76:77], v[84:85]
	v_fma_f64 v[74:75], v[50:51], s[4:5], v[74:75]
	v_fma_f64 v[84:85], v[50:51], s[44:45], v[94:95]
	v_mul_f64 v[121:122], v[52:53], s[34:35]
	v_fma_f64 v[94:95], v[50:51], s[38:39], v[94:95]
	v_add_f64 v[60:61], v[137:138], v[60:61]
	v_add_f64 v[86:87], v[117:118], v[86:87]
	v_mul_f64 v[117:118], v[52:53], s[18:19]
	v_fma_f64 v[123:124], v[50:51], s[10:11], v[119:120]
	v_fma_f64 v[119:120], v[50:51], s[42:43], v[119:120]
	v_add_f64 v[111:112], v[192:193], v[111:112]
	v_add_f64 v[74:75], v[74:75], v[80:81]
	;; [unrolled: 1-line block ×3, first 2 shown]
	v_fma_f64 v[82:83], v[50:51], s[26:27], v[121:122]
	v_add_f64 v[84:85], v[94:95], v[90:91]
	v_fma_f64 v[90:91], v[50:51], s[52:53], v[121:122]
	v_fma_f64 v[94:95], v[50:51], s[50:51], v[117:118]
	v_add_f64 v[58:59], v[119:120], v[58:59]
	v_mul_f64 v[119:120], v[52:53], s[36:37]
	v_fma_f64 v[117:118], v[50:51], s[6:7], v[117:118]
	v_add_f64 v[48:49], v[66:67], v[48:49]
	v_add_f64 v[82:83], v[82:83], v[109:110]
	v_mul_f64 v[109:110], v[52:53], s[28:29]
	v_add_f64 v[60:61], v[90:91], v[60:61]
	v_add_f64 v[90:91], v[94:95], v[111:112]
	v_mul_f64 v[52:53], v[52:53], s[24:25]
	v_fma_f64 v[66:67], v[50:51], s[46:47], v[119:120]
	v_add_f64 v[94:95], v[117:118], v[100:101]
	v_fma_f64 v[100:101], v[50:51], s[30:31], v[119:120]
	v_add_f64 v[46:47], v[64:65], -v[46:47]
	v_fma_f64 v[111:112], v[50:51], s[16:17], v[109:110]
	v_fma_f64 v[109:110], v[50:51], s[56:57], v[109:110]
	v_mul_f64 v[64:65], v[48:49], s[20:21]
	v_fma_f64 v[117:118], v[50:51], s[22:23], v[52:53]
	v_fma_f64 v[50:51], v[50:51], s[48:49], v[52:53]
	v_add_f64 v[66:67], v[66:67], v[88:89]
	v_add_f64 v[52:53], v[100:101], v[78:79]
	v_mul_f64 v[78:79], v[48:49], s[36:37]
	v_add_f64 v[88:89], v[111:112], v[113:114]
	v_add_f64 v[100:101], v[109:110], v[115:116]
	v_fma_f64 v[109:110], v[46:47], s[42:43], v[64:65]
	v_mul_f64 v[111:112], v[48:49], s[24:25]
	v_add_f64 v[50:51], v[50:51], v[76:77]
	v_fma_f64 v[64:65], v[46:47], s[10:11], v[64:65]
	v_mul_f64 v[113:114], v[48:49], s[18:19]
	v_fma_f64 v[76:77], v[46:47], s[30:31], v[78:79]
	v_fma_f64 v[78:79], v[46:47], s[46:47], v[78:79]
	v_add_f64 v[40:41], v[40:41], v[44:45]
	v_add_f64 v[86:87], v[109:110], v[86:87]
	v_mul_f64 v[109:110], v[48:49], s[40:41]
	v_fma_f64 v[115:116], v[46:47], s[22:23], v[111:112]
	v_fma_f64 v[111:112], v[46:47], s[48:49], v[111:112]
	v_add_f64 v[64:65], v[64:65], v[74:75]
	v_add_f64 v[74:75], v[76:77], v[80:81]
	v_fma_f64 v[76:77], v[46:47], s[50:51], v[113:114]
	v_add_f64 v[78:79], v[78:79], v[84:85]
	v_fma_f64 v[80:81], v[46:47], s[6:7], v[113:114]
	v_fma_f64 v[84:85], v[46:47], s[44:45], v[109:110]
	;; [unrolled: 1-line block ×3, first 2 shown]
	v_add_f64 v[58:59], v[111:112], v[58:59]
	v_mul_f64 v[111:112], v[48:49], s[12:13]
	v_mul_f64 v[44:45], v[48:49], s[28:29]
	v_add_f64 v[76:77], v[76:77], v[82:83]
	v_mul_f64 v[82:83], v[48:49], s[34:35]
	v_add_f64 v[60:61], v[80:81], v[60:61]
	v_add_f64 v[80:81], v[84:85], v[90:91]
	;; [unrolled: 1-line block ×3, first 2 shown]
	v_add_f64 v[34:35], v[34:35], -v[42:43]
	v_fma_f64 v[48:49], v[46:47], s[4:5], v[111:112]
	v_fma_f64 v[90:91], v[46:47], s[54:55], v[111:112]
	v_mul_f64 v[42:43], v[40:41], s[28:29]
	v_fma_f64 v[94:95], v[46:47], s[52:53], v[82:83]
	v_fma_f64 v[109:110], v[46:47], s[56:57], v[44:45]
	;; [unrolled: 1-line block ×4, first 2 shown]
	v_add_f64 v[32:33], v[32:33], v[38:39]
	v_add_f64 v[48:49], v[48:49], v[66:67]
	;; [unrolled: 1-line block ×3, first 2 shown]
	v_mul_f64 v[66:67], v[40:41], s[20:21]
	v_add_f64 v[52:53], v[94:95], v[88:89]
	v_fma_f64 v[88:89], v[34:35], s[56:57], v[42:43]
	v_mul_f64 v[90:91], v[40:41], s[34:35]
	v_add_f64 v[44:45], v[44:45], v[50:51]
	v_fma_f64 v[42:43], v[34:35], s[16:17], v[42:43]
	;; [unrolled: 3-line block ×3, first 2 shown]
	v_fma_f64 v[66:67], v[34:35], s[42:43], v[66:67]
	v_add_f64 v[86:87], v[88:89], v[86:87]
	v_mul_f64 v[88:89], v[40:41], s[12:13]
	v_fma_f64 v[100:101], v[34:35], s[52:53], v[90:91]
	v_fma_f64 v[90:91], v[34:35], s[26:27], v[90:91]
	v_add_f64 v[42:43], v[42:43], v[64:65]
	v_fma_f64 v[64:65], v[34:35], s[46:47], v[50:51]
	v_fma_f64 v[50:51], v[34:35], s[30:31], v[50:51]
	v_add_f64 v[66:67], v[66:67], v[78:79]
	v_mul_f64 v[38:39], v[40:41], s[18:19]
	v_fma_f64 v[78:79], v[34:35], s[4:5], v[88:89]
	v_add_f64 v[92:93], v[123:124], v[92:93]
	v_add_f64 v[58:59], v[90:91], v[58:59]
	v_mul_f64 v[90:91], v[40:41], s[24:25]
	v_add_f64 v[64:65], v[64:65], v[76:77]
	v_fma_f64 v[76:77], v[34:35], s[54:55], v[88:89]
	v_mul_f64 v[88:89], v[40:41], s[40:41]
	v_add_f64 v[50:51], v[50:51], v[60:61]
	v_add_f64 v[60:61], v[78:79], v[80:81]
	v_add_f64 v[30:31], v[30:31], -v[36:37]
	v_mul_f64 v[36:37], v[32:33], s[36:37]
	v_fma_f64 v[40:41], v[34:35], s[48:49], v[90:91]
	v_fma_f64 v[78:79], v[34:35], s[22:23], v[90:91]
	v_add_f64 v[76:77], v[76:77], v[84:85]
	v_fma_f64 v[80:81], v[34:35], s[44:45], v[88:89]
	v_fma_f64 v[84:85], v[34:35], s[38:39], v[88:89]
	v_fma_f64 v[88:89], v[34:35], s[6:7], v[38:39]
	v_fma_f64 v[34:35], v[34:35], s[50:51], v[38:39]
	v_add_f64 v[62:63], v[184:185], v[155:156]
	v_add_f64 v[92:93], v[115:116], v[92:93]
	;; [unrolled: 1-line block ×5, first 2 shown]
	v_mul_f64 v[48:49], v[32:33], s[18:19]
	v_fma_f64 v[78:79], v[30:31], s[46:47], v[36:37]
	v_mul_f64 v[80:81], v[32:33], s[12:13]
	v_fma_f64 v[36:37], v[30:31], s[30:31], v[36:37]
	v_add_f64 v[34:35], v[34:35], v[44:45]
	v_mul_f64 v[44:45], v[32:33], s[28:29]
	v_add_f64 v[62:63], v[125:126], v[62:63]
	v_add_f64 v[74:75], v[94:95], v[74:75]
	;; [unrolled: 1-line block ×4, first 2 shown]
	v_fma_f64 v[82:83], v[30:31], s[6:7], v[48:49]
	v_fma_f64 v[48:49], v[30:31], s[50:51], v[48:49]
	v_add_f64 v[78:79], v[78:79], v[86:87]
	v_mul_f64 v[84:85], v[32:33], s[34:35]
	v_fma_f64 v[86:87], v[30:31], s[54:55], v[80:81]
	v_add_f64 v[36:37], v[36:37], v[42:43]
	v_fma_f64 v[42:43], v[30:31], s[4:5], v[80:81]
	v_fma_f64 v[80:81], v[30:31], s[16:17], v[44:45]
	v_add_f64 v[62:63], v[117:118], v[62:63]
	v_add_f64 v[74:75], v[82:83], v[74:75]
	;; [unrolled: 1-line block ×3, first 2 shown]
	v_fma_f64 v[44:45], v[30:31], s[56:57], v[44:45]
	v_fma_f64 v[66:67], v[30:31], s[52:53], v[84:85]
	v_add_f64 v[82:83], v[86:87], v[92:93]
	v_mul_f64 v[86:87], v[32:33], s[40:41]
	v_add_f64 v[58:59], v[42:43], v[58:59]
	v_add_f64 v[64:65], v[80:81], v[64:65]
	v_fma_f64 v[42:43], v[30:31], s[26:27], v[84:85]
	v_mul_f64 v[80:81], v[32:33], s[24:25]
	v_add_f64 v[24:25], v[24:25], v[28:29]
	v_add_f64 v[62:63], v[109:110], v[62:63]
	;; [unrolled: 1-line block ×4, first 2 shown]
	v_fma_f64 v[28:29], v[30:31], s[44:45], v[86:87]
	v_fma_f64 v[60:61], v[30:31], s[38:39], v[86:87]
	v_mul_f64 v[32:33], v[32:33], s[20:21]
	v_add_f64 v[66:67], v[42:43], v[76:77]
	v_fma_f64 v[76:77], v[30:31], s[48:49], v[80:81]
	v_add_f64 v[22:23], v[22:23], -v[26:27]
	v_mul_f64 v[26:27], v[24:25], s[40:41]
	v_add_f64 v[62:63], v[88:89], v[62:63]
	v_add_f64 v[28:29], v[28:29], v[40:41]
	;; [unrolled: 1-line block ×3, first 2 shown]
	v_fma_f64 v[40:41], v[30:31], s[42:43], v[32:33]
	v_mul_f64 v[60:61], v[24:25], s[34:35]
	v_fma_f64 v[42:43], v[30:31], s[22:23], v[80:81]
	v_add_f64 v[52:53], v[76:77], v[52:53]
	v_fma_f64 v[30:31], v[30:31], s[10:11], v[32:33]
	v_fma_f64 v[32:33], v[22:23], s[44:45], v[26:27]
	v_mul_f64 v[76:77], v[24:25], s[36:37]
	v_fma_f64 v[26:27], v[22:23], s[38:39], v[26:27]
	v_add_f64 v[62:63], v[40:41], v[62:63]
	v_fma_f64 v[40:41], v[22:23], s[26:27], v[60:61]
	v_fma_f64 v[60:61], v[22:23], s[52:53], v[60:61]
	v_mul_f64 v[80:81], v[24:25], s[24:25]
	v_add_f64 v[38:39], v[42:43], v[38:39]
	v_add_f64 v[30:31], v[30:31], v[34:35]
	v_fma_f64 v[34:35], v[22:23], s[46:47], v[76:77]
	v_add_f64 v[42:43], v[26:27], v[36:37]
	v_fma_f64 v[26:27], v[22:23], s[30:31], v[76:77]
	v_add_f64 v[36:37], v[40:41], v[74:75]
	v_add_f64 v[40:41], v[60:61], v[48:49]
	v_fma_f64 v[60:61], v[22:23], s[48:49], v[80:81]
	v_mul_f64 v[74:75], v[24:25], s[28:29]
	v_fma_f64 v[48:49], v[22:23], s[22:23], v[80:81]
	v_mul_f64 v[76:77], v[24:25], s[18:19]
	v_add_f64 v[32:33], v[32:33], v[78:79]
	v_add_f64 v[26:27], v[26:27], v[58:59]
	v_mul_f64 v[58:59], v[24:25], s[20:21]
	v_mul_f64 v[24:25], v[24:25], s[12:13]
	v_add_f64 v[44:45], v[60:61], v[44:45]
	v_fma_f64 v[60:61], v[22:23], s[56:57], v[74:75]
	v_add_f64 v[48:49], v[48:49], v[64:65]
	v_fma_f64 v[64:65], v[22:23], s[16:17], v[74:75]
	v_fma_f64 v[74:75], v[22:23], s[6:7], v[76:77]
	;; [unrolled: 1-line block ×7, first 2 shown]
	v_add_f64 v[34:35], v[34:35], v[82:83]
	v_add_f64 v[50:51], v[60:61], v[50:51]
	;; [unrolled: 1-line block ×9, first 2 shown]
	s_waitcnt lgkmcnt(0)
	; wave barrier
	s_waitcnt lgkmcnt(0)
	ds_write2_b64 v181, v[20:21], v[32:33] offset1:17
	ds_write2_b64 v181, v[36:37], v[34:35] offset0:34 offset1:51
	ds_write2_b64 v181, v[48:49], v[50:51] offset0:68 offset1:85
	ds_write2_b64 v181, v[28:29], v[38:39] offset0:102 offset1:119
	ds_write2_b64 v181, v[60:61], v[24:25] offset0:136 offset1:153
	ds_write2_b64 v181, v[22:23], v[46:47] offset0:170 offset1:187
	ds_write2_b64 v181, v[58:59], v[44:45] offset0:204 offset1:221
	ds_write2_b64 v181, v[26:27], v[40:41] offset0:238 offset1:255
	ds_write_b64 v181, v[42:43] offset:2176
	v_add_u32_e32 v32, 0x800, v108
	v_add_u32_e32 v24, 0xc00, v108
	;; [unrolled: 1-line block ×4, first 2 shown]
	s_waitcnt lgkmcnt(0)
	; wave barrier
	s_waitcnt lgkmcnt(0)
	ds_read_b64 v[48:49], v108
	ds_read2_b64 v[20:23], v32 offset0:33 offset1:84
	ds_read2_b64 v[24:27], v24 offset0:109 offset1:194
	;; [unrolled: 1-line block ×5, first 2 shown]
	ds_read_b64 v[50:51], v172
	ds_read_b64 v[52:53], v173
	;; [unrolled: 1-line block ×4, first 2 shown]
                                        ; implicit-def: $vgpr44_vgpr45
	s_and_saveexec_b64 s[4:5], s[0:1]
	s_cbranch_execz .LBB0_17
; %bb.16:
	ds_read_b64 v[40:41], v171
	ds_read_b64 v[42:43], v108 offset:4352
	ds_read_b64 v[44:45], v108 offset:6664
.LBB0_17:
	s_or_b64 exec, exec, s[4:5]
	s_and_saveexec_b64 s[4:5], vcc
	s_cbranch_execz .LBB0_20
; %bb.18:
	v_lshlrev_b32_e32 v46, 1, v169
	v_mov_b32_e32 v47, 0
	v_lshlrev_b64 v[62:63], 4, v[46:47]
	v_mov_b32_e32 v100, s9
	v_add_co_u32_e32 v46, vcc, s8, v62
	v_addc_co_u32_e32 v62, vcc, v100, v63, vcc
	v_add_co_u32_e32 v66, vcc, 0x1100, v46
	v_addc_co_u32_e32 v67, vcc, 0, v62, vcc
	;; [unrolled: 2-line block ×3, first 2 shown]
	global_load_dwordx4 v[62:65], v[78:79], off offset:256
	global_load_dwordx4 v[74:77], v[66:67], off offset:16
	v_lshlrev_b32_e32 v46, 1, v168
	v_lshlrev_b64 v[66:67], 4, v[46:47]
	s_movk_i32 s4, 0x1100
	v_add_co_u32_e32 v46, vcc, s8, v66
	v_addc_co_u32_e32 v78, vcc, v100, v67, vcc
	v_add_co_u32_e32 v66, vcc, s4, v46
	s_movk_i32 s10, 0x1000
	v_addc_co_u32_e32 v67, vcc, 0, v78, vcc
	v_add_co_u32_e32 v86, vcc, s10, v46
	v_addc_co_u32_e32 v87, vcc, 0, v78, vcc
	v_lshlrev_b32_e32 v46, 1, v167
	global_load_dwordx4 v[78:81], v[86:87], off offset:256
	global_load_dwordx4 v[82:85], v[66:67], off offset:16
	v_lshlrev_b64 v[66:67], 4, v[46:47]
	v_mul_lo_u32 v71, s58, v71
	v_add_co_u32_e32 v46, vcc, s8, v66
	v_addc_co_u32_e32 v90, vcc, v100, v67, vcc
	v_add_co_u32_e32 v66, vcc, s10, v46
	v_addc_co_u32_e32 v67, vcc, 0, v90, vcc
	global_load_dwordx4 v[86:89], v[66:67], off offset:256
	v_add_co_u32_e32 v66, vcc, s4, v46
	v_addc_co_u32_e32 v67, vcc, 0, v90, vcc
	global_load_dwordx4 v[90:93], v[66:67], off offset:16
	v_lshlrev_b32_e32 v46, 1, v166
	v_lshlrev_b64 v[66:67], 4, v[46:47]
	s_mov_b32 s7, 0x3febb67a
	v_add_co_u32_e32 v46, vcc, s8, v66
	v_addc_co_u32_e32 v95, vcc, v100, v67, vcc
	v_add_co_u32_e32 v66, vcc, s4, v46
	v_addc_co_u32_e32 v67, vcc, 0, v95, vcc
	;; [unrolled: 2-line block ×3, first 2 shown]
	global_load_dwordx4 v[108:111], v[94:95], off offset:256
	global_load_dwordx4 v[112:115], v[66:67], off offset:16
	v_lshlrev_b32_e32 v46, 1, v164
	v_lshlrev_b64 v[66:67], 4, v[46:47]
	s_mov_b32 s12, 0xe2c4a689
	v_add_co_u32_e32 v46, vcc, s8, v66
	v_addc_co_u32_e32 v95, vcc, v100, v67, vcc
	v_add_co_u32_e32 v66, vcc, s4, v46
	v_addc_co_u32_e32 v67, vcc, 0, v95, vcc
	;; [unrolled: 2-line block ×3, first 2 shown]
	global_load_dwordx4 v[116:119], v[94:95], off offset:256
	global_load_dwordx4 v[120:123], v[66:67], off offset:16
	v_mul_lo_u32 v46, s59, v70
	s_movk_i32 s13, 0x363
	s_movk_i32 s11, 0x121
	s_waitcnt vmcnt(9)
	v_mul_f64 v[66:67], v[0:1], v[64:65]
	s_waitcnt vmcnt(8)
	v_mul_f64 v[94:95], v[18:19], v[76:77]
	s_waitcnt lgkmcnt(7)
	v_mul_f64 v[64:65], v[24:25], v[64:65]
	s_waitcnt lgkmcnt(4)
	v_mul_f64 v[76:77], v[38:39], v[76:77]
	v_fma_f64 v[24:25], v[24:25], v[62:63], -v[66:67]
	v_fma_f64 v[38:39], v[38:39], v[74:75], -v[94:95]
	v_fma_f64 v[0:1], v[0:1], v[62:63], v[64:65]
	v_fma_f64 v[62:63], v[18:19], v[74:75], v[76:77]
	v_mad_u64_u32 v[66:67], s[4:5], s58, v70, 0
	s_mov_b32 s4, 0xe8584caa
	s_mov_b32 s5, 0xbfebb67a
	v_add3_u32 v67, v67, v71, v46
	v_add_f64 v[18:19], v[24:25], v[38:39]
	s_waitcnt vmcnt(7)
	v_mul_f64 v[64:65], v[14:15], v[80:81]
	s_waitcnt vmcnt(6)
	v_mul_f64 v[74:75], v[16:17], v[84:85]
	v_add_f64 v[70:71], v[0:1], v[62:63]
	v_mul_f64 v[76:77], v[34:35], v[80:81]
	v_mul_f64 v[80:81], v[36:37], v[84:85]
	v_add_f64 v[84:85], v[0:1], -v[62:63]
	s_mov_b32 s6, s4
	s_waitcnt lgkmcnt(0)
	v_fma_f64 v[18:19], v[18:19], -0.5, v[60:61]
	v_add_f64 v[60:61], v[60:61], v[24:25]
	v_fma_f64 v[64:65], v[34:35], v[78:79], -v[64:65]
	v_fma_f64 v[74:75], v[36:37], v[82:83], -v[74:75]
	v_add_f64 v[24:25], v[24:25], -v[38:39]
	s_waitcnt vmcnt(5)
	v_mul_f64 v[94:95], v[12:13], v[88:89]
	v_fma_f64 v[70:71], v[70:71], -0.5, v[106:107]
	v_fma_f64 v[14:15], v[14:15], v[78:79], v[76:77]
	v_fma_f64 v[36:37], v[84:85], s[4:5], v[18:19]
	v_add_f64 v[60:61], v[60:61], v[38:39]
	s_waitcnt vmcnt(4)
	v_mul_f64 v[100:101], v[10:11], v[92:93]
	v_fma_f64 v[38:39], v[16:17], v[82:83], v[80:81]
	v_add_f64 v[76:77], v[64:65], v[74:75]
	v_fma_f64 v[78:79], v[32:33], v[86:87], -v[94:95]
	v_mul_f64 v[32:33], v[32:33], v[88:89]
	v_fma_f64 v[18:19], v[84:85], s[6:7], v[18:19]
	v_fma_f64 v[34:35], v[24:25], s[6:7], v[70:71]
	;; [unrolled: 1-line block ×3, first 2 shown]
	v_fma_f64 v[80:81], v[30:31], v[90:91], -v[100:101]
	v_mul_f64 v[30:31], v[30:31], v[92:93]
	v_add_f64 v[0:1], v[106:107], v[0:1]
	v_add_f64 v[24:25], v[14:15], v[38:39]
	v_fma_f64 v[84:85], v[12:13], v[86:87], v[32:33]
	v_fma_f64 v[70:71], v[76:77], -0.5, v[58:59]
	v_add_f64 v[76:77], v[14:15], -v[38:39]
	v_mul_hi_u32 v46, v164, s12
	v_add_f64 v[82:83], v[78:79], v[80:81]
	v_fma_f64 v[86:87], v[10:11], v[90:91], v[30:31]
	v_add_f64 v[10:11], v[58:59], v[64:65]
	v_add_f64 v[30:31], v[64:65], -v[74:75]
	v_fma_f64 v[24:25], v[24:25], -0.5, v[104:105]
	v_add_f64 v[58:59], v[0:1], v[62:63]
	v_add_f64 v[0:1], v[104:105], v[14:15]
	v_fma_f64 v[12:13], v[76:77], s[4:5], v[70:71]
	v_fma_f64 v[14:15], v[82:83], -0.5, v[52:53]
	v_add_f64 v[82:83], v[84:85], -v[86:87]
	v_fma_f64 v[32:33], v[76:77], s[6:7], v[70:71]
	v_add_f64 v[64:65], v[10:11], v[74:75]
	s_waitcnt vmcnt(3)
	v_mul_f64 v[70:71], v[6:7], v[110:111]
	s_waitcnt vmcnt(2)
	v_mul_f64 v[74:75], v[8:9], v[114:115]
	v_fma_f64 v[10:11], v[30:31], s[6:7], v[24:25]
	v_fma_f64 v[30:31], v[30:31], s[4:5], v[24:25]
	v_add_f64 v[62:63], v[0:1], v[38:39]
	v_fma_f64 v[24:25], v[82:83], s[4:5], v[14:15]
	v_fma_f64 v[76:77], v[82:83], s[6:7], v[14:15]
	v_add_f64 v[0:1], v[52:53], v[78:79]
	v_add_f64 v[14:15], v[84:85], v[86:87]
	v_fma_f64 v[38:39], v[22:23], v[108:109], -v[70:71]
	v_fma_f64 v[52:53], v[28:29], v[112:113], -v[74:75]
	v_mul_f64 v[22:23], v[22:23], v[110:111]
	v_mul_f64 v[70:71], v[28:29], v[114:115]
	s_waitcnt vmcnt(1)
	v_mul_f64 v[74:75], v[4:5], v[118:119]
	s_waitcnt vmcnt(0)
	v_mul_f64 v[82:83], v[2:3], v[122:123]
	v_add_f64 v[28:29], v[0:1], v[80:81]
	v_add_f64 v[0:1], v[78:79], -v[80:81]
	v_fma_f64 v[14:15], v[14:15], -0.5, v[102:103]
	v_add_f64 v[78:79], v[38:39], v[52:53]
	v_fma_f64 v[6:7], v[6:7], v[108:109], v[22:23]
	v_fma_f64 v[70:71], v[8:9], v[112:113], v[70:71]
	v_fma_f64 v[88:89], v[20:21], v[116:117], -v[74:75]
	v_mul_f64 v[8:9], v[20:21], v[118:119]
	v_mul_f64 v[20:21], v[26:27], v[122:123]
	v_fma_f64 v[82:83], v[26:27], v[120:121], -v[82:83]
	v_fma_f64 v[22:23], v[0:1], s[6:7], v[14:15]
	v_fma_f64 v[74:75], v[0:1], s[4:5], v[14:15]
	v_add_f64 v[0:1], v[102:103], v[84:85]
	v_add_f64 v[14:15], v[6:7], v[70:71]
	v_fma_f64 v[78:79], v[78:79], -0.5, v[50:51]
	v_fma_f64 v[84:85], v[4:5], v[116:117], v[8:9]
	v_fma_f64 v[20:21], v[2:3], v[120:121], v[20:21]
	v_add_f64 v[2:3], v[6:7], -v[70:71]
	v_add_f64 v[50:51], v[50:51], v[38:39]
	v_add_f64 v[80:81], v[88:89], v[82:83]
	;; [unrolled: 1-line block ×4, first 2 shown]
	v_add_f64 v[38:39], v[38:39], -v[52:53]
	v_fma_f64 v[14:15], v[14:15], -0.5, v[98:99]
	v_lshrrev_b32_e32 v46, 8, v46
	v_fma_f64 v[4:5], v[2:3], s[4:5], v[78:79]
	v_fma_f64 v[8:9], v[2:3], s[6:7], v[78:79]
	v_add_f64 v[78:79], v[84:85], v[20:21]
	v_add_f64 v[52:53], v[50:51], v[52:53]
	;; [unrolled: 1-line block ×4, first 2 shown]
	v_mul_u32_u24_e32 v46, 0x121, v46
	v_sub_u32_e32 v46, v164, v46
	v_mad_u64_u32 v[70:71], s[16:17], s2, v46, 0
	v_fma_f64 v[86:87], v[80:81], -0.5, v[48:49]
	v_add_f64 v[90:91], v[84:85], -v[20:21]
	v_fma_f64 v[2:3], v[38:39], s[6:7], v[14:15]
	v_fma_f64 v[6:7], v[38:39], s[4:5], v[14:15]
	v_add_f64 v[14:15], v[88:89], -v[82:83]
	v_fma_f64 v[38:39], v[78:79], -0.5, v[96:97]
	v_add_f64 v[48:49], v[96:97], v[84:85]
	v_add_f64 v[88:89], v[0:1], v[82:83]
	v_mov_b32_e32 v0, v71
	v_mad_u64_u32 v[0:1], s[16:17], s3, v46, v[0:1]
	v_fma_f64 v[80:81], v[90:91], s[4:5], v[86:87]
	v_fma_f64 v[84:85], v[90:91], s[6:7], v[86:87]
	v_mov_b32_e32 v71, v0
	v_lshlrev_b64 v[0:1], 4, v[66:67]
	v_fma_f64 v[78:79], v[14:15], s[6:7], v[38:39]
	v_fma_f64 v[82:83], v[14:15], s[4:5], v[38:39]
	v_add_f64 v[86:87], v[48:49], v[20:21]
	v_mov_b32_e32 v14, s15
	v_add_co_u32_e32 v20, vcc, s14, v0
	v_add_u32_e32 v38, 0x121, v46
	v_addc_co_u32_e32 v21, vcc, v14, v1, vcc
	v_mad_u64_u32 v[14:15], s[14:15], s2, v38, 0
	v_lshlrev_b64 v[0:1], 4, v[68:69]
	v_add_co_u32_e32 v0, vcc, v20, v0
	v_mad_u64_u32 v[38:39], s[14:15], s3, v38, v[15:16]
	v_addc_co_u32_e32 v1, vcc, v21, v1, vcc
	v_lshlrev_b64 v[20:21], 4, v[70:71]
	v_mov_b32_e32 v15, v38
	v_add_co_u32_e32 v20, vcc, v0, v20
	v_addc_co_u32_e32 v21, vcc, v1, v21, vcc
	v_add_u32_e32 v38, 0x242, v46
	global_store_dwordx4 v[20:21], v[86:89], off
	v_mad_u64_u32 v[20:21], s[14:15], s2, v38, 0
	v_lshlrev_b64 v[14:15], 4, v[14:15]
	v_mad_u64_u32 v[38:39], s[14:15], s3, v38, v[21:22]
	v_add_u32_e32 v39, 51, v164
	v_mul_hi_u32 v46, v39, s12
	v_add_co_u32_e32 v14, vcc, v0, v14
	v_addc_co_u32_e32 v15, vcc, v1, v15, vcc
	v_mov_b32_e32 v21, v38
	global_store_dwordx4 v[14:15], v[82:85], off
	v_lshlrev_b64 v[14:15], 4, v[20:21]
	v_lshrrev_b32_e32 v20, 8, v46
	v_mul_u32_u24_e32 v21, 0x121, v20
	v_sub_u32_e32 v21, v39, v21
	v_mad_u32_u24 v46, v20, s13, v21
	v_mad_u64_u32 v[20:21], s[14:15], s2, v46, 0
	v_add_co_u32_e32 v14, vcc, v0, v14
	v_mad_u64_u32 v[38:39], s[14:15], s3, v46, v[21:22]
	v_add_u32_e32 v39, 0x121, v46
	v_mad_u64_u32 v[48:49], s[14:15], s2, v39, 0
	v_addc_co_u32_e32 v15, vcc, v1, v15, vcc
	v_mov_b32_e32 v21, v38
	global_store_dwordx4 v[14:15], v[78:81], off
	v_lshlrev_b64 v[14:15], 4, v[20:21]
	v_mov_b32_e32 v20, v49
	v_mad_u64_u32 v[20:21], s[14:15], s3, v39, v[20:21]
	v_add_u32_e32 v38, 0x242, v46
	v_add_co_u32_e32 v14, vcc, v0, v14
	v_mov_b32_e32 v49, v20
	v_mad_u64_u32 v[20:21], s[14:15], s2, v38, 0
	v_addc_co_u32_e32 v15, vcc, v1, v15, vcc
	v_mad_u64_u32 v[38:39], s[14:15], s3, v38, v[21:22]
	v_add_u32_e32 v39, 0x66, v164
	global_store_dwordx4 v[14:15], v[50:53], off
	v_lshlrev_b64 v[14:15], 4, v[48:49]
	v_mul_hi_u32 v46, v39, s12
	v_add_co_u32_e32 v14, vcc, v0, v14
	v_addc_co_u32_e32 v15, vcc, v1, v15, vcc
	global_store_dwordx4 v[14:15], v[6:9], off
	v_mov_b32_e32 v21, v38
	v_lshrrev_b32_e32 v8, 8, v46
	v_mul_u32_u24_e32 v9, 0x121, v8
	v_sub_u32_e32 v9, v39, v9
	v_mad_u32_u24 v38, v8, s13, v9
	v_mad_u64_u32 v[8:9], s[14:15], s2, v38, 0
	v_lshlrev_b64 v[6:7], 4, v[20:21]
	v_mad_u64_u32 v[14:15], s[14:15], s3, v38, v[9:10]
	v_add_u32_e32 v15, 0x121, v38
	v_mad_u64_u32 v[20:21], s[14:15], s2, v15, 0
	v_add_co_u32_e32 v6, vcc, v0, v6
	v_addc_co_u32_e32 v7, vcc, v1, v7, vcc
	global_store_dwordx4 v[6:7], v[2:5], off
	v_add_u32_e32 v6, 0x242, v38
	v_mov_b32_e32 v4, v21
	v_mad_u64_u32 v[4:5], s[14:15], s3, v15, v[4:5]
	v_mov_b32_e32 v9, v14
	v_lshlrev_b64 v[2:3], 4, v[8:9]
	v_mov_b32_e32 v21, v4
	v_mad_u64_u32 v[4:5], s[14:15], s2, v6, 0
	v_add_co_u32_e32 v2, vcc, v0, v2
	v_mad_u64_u32 v[5:6], s[14:15], s3, v6, v[5:6]
	v_addc_co_u32_e32 v3, vcc, v1, v3, vcc
	v_add_u32_e32 v6, 0x99, v164
	global_store_dwordx4 v[2:3], v[26:29], off
	v_lshlrev_b64 v[2:3], 4, v[20:21]
	v_mul_hi_u32 v7, v6, s12
	v_add_co_u32_e32 v2, vcc, v0, v2
	v_addc_co_u32_e32 v3, vcc, v1, v3, vcc
	global_store_dwordx4 v[2:3], v[74:77], off
	v_lshlrev_b64 v[2:3], 4, v[4:5]
	v_lshrrev_b32_e32 v4, 8, v7
	v_mul_u32_u24_e32 v5, 0x121, v4
	v_sub_u32_e32 v5, v6, v5
	v_mad_u32_u24 v8, v4, s13, v5
	v_mad_u64_u32 v[4:5], s[14:15], s2, v8, 0
	v_add_u32_e32 v9, 0x121, v8
	v_add_co_u32_e32 v2, vcc, v0, v2
	v_mad_u64_u32 v[5:6], s[14:15], s3, v8, v[5:6]
	v_mad_u64_u32 v[6:7], s[14:15], s2, v9, 0
	v_addc_co_u32_e32 v3, vcc, v1, v3, vcc
	global_store_dwordx4 v[2:3], v[22:25], off
	v_lshlrev_b64 v[2:3], 4, v[4:5]
	v_mov_b32_e32 v4, v7
	v_mad_u64_u32 v[4:5], s[14:15], s3, v9, v[4:5]
	v_add_co_u32_e32 v2, vcc, v0, v2
	v_addc_co_u32_e32 v3, vcc, v1, v3, vcc
	v_mov_b32_e32 v7, v4
	global_store_dwordx4 v[2:3], v[62:65], off
	v_lshlrev_b64 v[2:3], 4, v[6:7]
	v_add_u32_e32 v6, 0x242, v8
	v_mad_u64_u32 v[4:5], s[14:15], s2, v6, 0
	v_add_u32_e32 v7, 0xcc, v164
	v_mul_hi_u32 v8, v7, s12
	v_mad_u64_u32 v[5:6], s[14:15], s3, v6, v[5:6]
	v_add_co_u32_e32 v2, vcc, v0, v2
	v_lshrrev_b32_e32 v6, 8, v8
	v_mul_u32_u24_e32 v8, 0x121, v6
	v_sub_u32_e32 v7, v7, v8
	v_mad_u32_u24 v8, v6, s13, v7
	v_mad_u64_u32 v[6:7], s[12:13], s2, v8, 0
	v_addc_co_u32_e32 v3, vcc, v1, v3, vcc
	global_store_dwordx4 v[2:3], v[30:33], off
	v_lshlrev_b64 v[2:3], 4, v[4:5]
	v_mov_b32_e32 v4, v7
	v_mad_u64_u32 v[4:5], s[12:13], s3, v8, v[4:5]
	v_add_co_u32_e32 v2, vcc, v0, v2
	v_addc_co_u32_e32 v3, vcc, v1, v3, vcc
	v_mov_b32_e32 v7, v4
	global_store_dwordx4 v[2:3], v[10:13], off
	v_lshlrev_b64 v[2:3], 4, v[6:7]
	v_add_u32_e32 v6, 0x121, v8
	v_mad_u64_u32 v[4:5], s[12:13], s2, v6, 0
	v_add_u32_e32 v8, 0x242, v8
	v_add_co_u32_e32 v2, vcc, v0, v2
	v_mad_u64_u32 v[5:6], s[12:13], s3, v6, v[5:6]
	v_mad_u64_u32 v[6:7], s[12:13], s2, v8, 0
	v_addc_co_u32_e32 v3, vcc, v1, v3, vcc
	global_store_dwordx4 v[2:3], v[58:61], off
	v_lshlrev_b64 v[2:3], 4, v[4:5]
	v_mov_b32_e32 v4, v7
	v_mad_u64_u32 v[4:5], s[12:13], s3, v8, v[4:5]
	v_add_co_u32_e32 v2, vcc, v0, v2
	v_addc_co_u32_e32 v3, vcc, v1, v3, vcc
	v_mov_b32_e32 v7, v4
	global_store_dwordx4 v[2:3], v[16:19], off
	v_lshlrev_b64 v[2:3], 4, v[6:7]
	v_add_co_u32_e32 v2, vcc, v0, v2
	v_addc_co_u32_e32 v3, vcc, v1, v3, vcc
	global_store_dwordx4 v[2:3], v[34:37], off
	v_add_u32_e32 v2, 0xff, v164
	v_cmp_gt_u32_e32 vcc, s11, v2
	s_and_b64 exec, exec, vcc
	s_cbranch_execz .LBB0_20
; %bb.19:
	v_subrev_u32_e32 v3, 34, v164
	v_cndmask_b32_e64 v3, v3, v165, s[0:1]
	v_lshlrev_b32_e32 v46, 1, v3
	v_lshlrev_b64 v[3:4], 4, v[46:47]
	v_mov_b32_e32 v5, s9
	v_add_co_u32_e32 v3, vcc, s8, v3
	v_addc_co_u32_e32 v8, vcc, v5, v4, vcc
	v_add_co_u32_e32 v7, vcc, 0x1100, v3
	s_mov_b64 s[0:1], vcc
	v_add_co_u32_e32 v3, vcc, s10, v3
	v_addc_co_u32_e32 v4, vcc, 0, v8, vcc
	v_addc_co_u32_e64 v8, vcc, 0, v8, s[0:1]
	global_load_dwordx4 v[3:6], v[3:4], off offset:256
	v_add_u32_e32 v22, 0x220, v164
	global_load_dwordx4 v[7:10], v[7:8], off offset:16
	v_mad_u64_u32 v[11:12], s[0:1], s2, v2, 0
	v_mad_u64_u32 v[13:14], s[0:1], s2, v22, 0
	v_add_u32_e32 v24, 0x341, v164
	v_mad_u64_u32 v[15:16], s[0:1], s2, v24, 0
	v_mad_u64_u32 v[17:18], s[0:1], s3, v2, v[12:13]
	v_mov_b32_e32 v2, v14
	v_mov_b32_e32 v12, v16
	s_waitcnt vmcnt(1)
	v_mul_f64 v[18:19], v[42:43], v[5:6]
	v_mul_f64 v[5:6], v[56:57], v[5:6]
	s_waitcnt vmcnt(0)
	v_mul_f64 v[20:21], v[44:45], v[9:10]
	v_mul_f64 v[9:10], v[72:73], v[9:10]
	v_mad_u64_u32 v[22:23], s[0:1], s3, v22, v[2:3]
	v_fma_f64 v[18:19], v[56:57], v[3:4], v[18:19]
	v_fma_f64 v[2:3], v[42:43], v[3:4], -v[5:6]
	v_fma_f64 v[4:5], v[72:73], v[7:8], v[20:21]
	v_fma_f64 v[6:7], v[44:45], v[7:8], -v[9:10]
	v_mad_u64_u32 v[8:9], s[0:1], s3, v24, v[12:13]
	v_mov_b32_e32 v12, v17
	v_lshlrev_b64 v[9:10], 4, v[11:12]
	v_mov_b32_e32 v14, v22
	v_mov_b32_e32 v16, v8
	v_add_f64 v[11:12], v[18:19], v[4:5]
	v_add_f64 v[20:21], v[2:3], v[6:7]
	v_lshlrev_b64 v[22:23], 4, v[13:14]
	v_lshlrev_b64 v[14:15], 4, v[15:16]
	v_add_f64 v[16:17], v[54:55], v[18:19]
	v_add_f64 v[26:27], v[40:41], v[2:3]
	v_add_f64 v[24:25], v[2:3], -v[6:7]
	v_add_f64 v[18:19], v[18:19], -v[4:5]
	v_fma_f64 v[11:12], v[11:12], -0.5, v[54:55]
	v_fma_f64 v[20:21], v[20:21], -0.5, v[40:41]
	v_add_co_u32_e32 v28, vcc, v0, v9
	v_add_f64 v[2:3], v[16:17], v[4:5]
	v_add_f64 v[4:5], v[26:27], v[6:7]
	v_addc_co_u32_e32 v29, vcc, v1, v10, vcc
	v_fma_f64 v[6:7], v[24:25], s[4:5], v[11:12]
	v_fma_f64 v[8:9], v[18:19], s[6:7], v[20:21]
	;; [unrolled: 1-line block ×4, first 2 shown]
	v_add_co_u32_e32 v16, vcc, v0, v22
	v_addc_co_u32_e32 v17, vcc, v1, v23, vcc
	v_add_co_u32_e32 v0, vcc, v0, v14
	v_addc_co_u32_e32 v1, vcc, v1, v15, vcc
	global_store_dwordx4 v[28:29], v[2:5], off
	global_store_dwordx4 v[16:17], v[6:9], off
	;; [unrolled: 1-line block ×3, first 2 shown]
.LBB0_20:
	s_endpgm
	.section	.rodata,"a",@progbits
	.p2align	6, 0x0
	.amdhsa_kernel fft_rtc_back_len867_factors_17_17_3_wgs_51_tpt_51_halfLds_dp_op_CI_CI_sbrr_dirReg
		.amdhsa_group_segment_fixed_size 0
		.amdhsa_private_segment_fixed_size 0
		.amdhsa_kernarg_size 104
		.amdhsa_user_sgpr_count 6
		.amdhsa_user_sgpr_private_segment_buffer 1
		.amdhsa_user_sgpr_dispatch_ptr 0
		.amdhsa_user_sgpr_queue_ptr 0
		.amdhsa_user_sgpr_kernarg_segment_ptr 1
		.amdhsa_user_sgpr_dispatch_id 0
		.amdhsa_user_sgpr_flat_scratch_init 0
		.amdhsa_user_sgpr_private_segment_size 0
		.amdhsa_uses_dynamic_stack 0
		.amdhsa_system_sgpr_private_segment_wavefront_offset 0
		.amdhsa_system_sgpr_workgroup_id_x 1
		.amdhsa_system_sgpr_workgroup_id_y 0
		.amdhsa_system_sgpr_workgroup_id_z 0
		.amdhsa_system_sgpr_workgroup_info 0
		.amdhsa_system_vgpr_workitem_id 0
		.amdhsa_next_free_vgpr 250
		.amdhsa_next_free_sgpr 62
		.amdhsa_reserve_vcc 1
		.amdhsa_reserve_flat_scratch 0
		.amdhsa_float_round_mode_32 0
		.amdhsa_float_round_mode_16_64 0
		.amdhsa_float_denorm_mode_32 3
		.amdhsa_float_denorm_mode_16_64 3
		.amdhsa_dx10_clamp 1
		.amdhsa_ieee_mode 1
		.amdhsa_fp16_overflow 0
		.amdhsa_exception_fp_ieee_invalid_op 0
		.amdhsa_exception_fp_denorm_src 0
		.amdhsa_exception_fp_ieee_div_zero 0
		.amdhsa_exception_fp_ieee_overflow 0
		.amdhsa_exception_fp_ieee_underflow 0
		.amdhsa_exception_fp_ieee_inexact 0
		.amdhsa_exception_int_div_zero 0
	.end_amdhsa_kernel
	.text
.Lfunc_end0:
	.size	fft_rtc_back_len867_factors_17_17_3_wgs_51_tpt_51_halfLds_dp_op_CI_CI_sbrr_dirReg, .Lfunc_end0-fft_rtc_back_len867_factors_17_17_3_wgs_51_tpt_51_halfLds_dp_op_CI_CI_sbrr_dirReg
                                        ; -- End function
	.section	.AMDGPU.csdata,"",@progbits
; Kernel info:
; codeLenInByte = 18444
; NumSgprs: 66
; NumVgprs: 250
; ScratchSize: 0
; MemoryBound: 1
; FloatMode: 240
; IeeeMode: 1
; LDSByteSize: 0 bytes/workgroup (compile time only)
; SGPRBlocks: 8
; VGPRBlocks: 62
; NumSGPRsForWavesPerEU: 66
; NumVGPRsForWavesPerEU: 250
; Occupancy: 1
; WaveLimiterHint : 1
; COMPUTE_PGM_RSRC2:SCRATCH_EN: 0
; COMPUTE_PGM_RSRC2:USER_SGPR: 6
; COMPUTE_PGM_RSRC2:TRAP_HANDLER: 0
; COMPUTE_PGM_RSRC2:TGID_X_EN: 1
; COMPUTE_PGM_RSRC2:TGID_Y_EN: 0
; COMPUTE_PGM_RSRC2:TGID_Z_EN: 0
; COMPUTE_PGM_RSRC2:TIDIG_COMP_CNT: 0
	.type	__hip_cuid_7b66b2e13f97f4eb,@object ; @__hip_cuid_7b66b2e13f97f4eb
	.section	.bss,"aw",@nobits
	.globl	__hip_cuid_7b66b2e13f97f4eb
__hip_cuid_7b66b2e13f97f4eb:
	.byte	0                               ; 0x0
	.size	__hip_cuid_7b66b2e13f97f4eb, 1

	.ident	"AMD clang version 19.0.0git (https://github.com/RadeonOpenCompute/llvm-project roc-6.4.0 25133 c7fe45cf4b819c5991fe208aaa96edf142730f1d)"
	.section	".note.GNU-stack","",@progbits
	.addrsig
	.addrsig_sym __hip_cuid_7b66b2e13f97f4eb
	.amdgpu_metadata
---
amdhsa.kernels:
  - .args:
      - .actual_access:  read_only
        .address_space:  global
        .offset:         0
        .size:           8
        .value_kind:     global_buffer
      - .offset:         8
        .size:           8
        .value_kind:     by_value
      - .actual_access:  read_only
        .address_space:  global
        .offset:         16
        .size:           8
        .value_kind:     global_buffer
      - .actual_access:  read_only
        .address_space:  global
        .offset:         24
        .size:           8
        .value_kind:     global_buffer
      - .actual_access:  read_only
        .address_space:  global
        .offset:         32
        .size:           8
        .value_kind:     global_buffer
      - .offset:         40
        .size:           8
        .value_kind:     by_value
      - .actual_access:  read_only
        .address_space:  global
        .offset:         48
        .size:           8
        .value_kind:     global_buffer
      - .actual_access:  read_only
        .address_space:  global
        .offset:         56
        .size:           8
        .value_kind:     global_buffer
      - .offset:         64
        .size:           4
        .value_kind:     by_value
      - .actual_access:  read_only
        .address_space:  global
        .offset:         72
        .size:           8
        .value_kind:     global_buffer
      - .actual_access:  read_only
        .address_space:  global
        .offset:         80
        .size:           8
        .value_kind:     global_buffer
      - .actual_access:  read_only
        .address_space:  global
        .offset:         88
        .size:           8
        .value_kind:     global_buffer
      - .actual_access:  write_only
        .address_space:  global
        .offset:         96
        .size:           8
        .value_kind:     global_buffer
    .group_segment_fixed_size: 0
    .kernarg_segment_align: 8
    .kernarg_segment_size: 104
    .language:       OpenCL C
    .language_version:
      - 2
      - 0
    .max_flat_workgroup_size: 51
    .name:           fft_rtc_back_len867_factors_17_17_3_wgs_51_tpt_51_halfLds_dp_op_CI_CI_sbrr_dirReg
    .private_segment_fixed_size: 0
    .sgpr_count:     66
    .sgpr_spill_count: 0
    .symbol:         fft_rtc_back_len867_factors_17_17_3_wgs_51_tpt_51_halfLds_dp_op_CI_CI_sbrr_dirReg.kd
    .uniform_work_group_size: 1
    .uses_dynamic_stack: false
    .vgpr_count:     250
    .vgpr_spill_count: 0
    .wavefront_size: 64
amdhsa.target:   amdgcn-amd-amdhsa--gfx906
amdhsa.version:
  - 1
  - 2
...

	.end_amdgpu_metadata
